;; amdgpu-corpus repo=ggml-org/llama.cpp kind=compiled arch=gfx90a opt=O3
	.text
	.amdgcn_target "amdgcn-amd-amdhsa--gfx90a"
	.amdhsa_code_object_version 6
	.section	.text._ZL12rwkv_wkv_f32ILi64EEviiiiPKfS1_S1_S1_S1_S1_Pf,"axG",@progbits,_ZL12rwkv_wkv_f32ILi64EEviiiiPKfS1_S1_S1_S1_S1_Pf,comdat
	.globl	_ZL12rwkv_wkv_f32ILi64EEviiiiPKfS1_S1_S1_S1_S1_Pf ; -- Begin function _ZL12rwkv_wkv_f32ILi64EEviiiiPKfS1_S1_S1_S1_S1_Pf
	.p2align	8
	.type	_ZL12rwkv_wkv_f32ILi64EEviiiiPKfS1_S1_S1_S1_S1_Pf,@function
_ZL12rwkv_wkv_f32ILi64EEviiiiPKfS1_S1_S1_S1_S1_Pf: ; @_ZL12rwkv_wkv_f32ILi64EEviiiiPKfS1_S1_S1_S1_S1_Pf
; %bb.0:
	s_load_dwordx4 s[16:19], s[4:5], 0x0
	s_mov_b64 s[22:23], s[2:3]
	s_mov_b64 s[20:21], s[0:1]
	s_add_u32 s20, s20, s7
	s_addc_u32 s21, s21, 0
	s_waitcnt lgkmcnt(0)
	s_abs_i32 s0, s19
	v_cvt_f32_u32_e32 v1, s0
	s_sub_i32 s3, 0, s0
	s_abs_i32 s1, s6
	s_load_dwordx8 s[8:15], s[4:5], 0x30
	v_rcp_iflag_f32_e32 v1, v1
	s_xor_b32 s2, s6, s19
	s_ashr_i32 s2, s2, 31
	s_waitcnt lgkmcnt(0)
	v_mov_b32_e32 v4, s11
	v_mul_f32_e32 v1, 0x4f7ffffe, v1
	v_cvt_u32_f32_e32 v1, v1
	v_readfirstlane_b32 s7, v1
	s_mul_i32 s3, s3, s7
	s_mul_hi_u32 s3, s7, s3
	s_add_i32 s7, s7, s3
	s_mul_hi_u32 s3, s1, s7
	s_mul_i32 s7, s3, s0
	s_sub_i32 s1, s1, s7
	s_add_i32 s14, s3, 1
	s_sub_i32 s7, s1, s0
	s_cmp_ge_u32 s1, s0
	s_cselect_b32 s3, s14, s3
	s_cselect_b32 s1, s7, s1
	s_add_i32 s7, s3, 1
	s_cmp_ge_u32 s1, s0
	s_cselect_b32 s0, s7, s3
	s_xor_b32 s0, s0, s2
	s_sub_i32 s14, s0, s2
	s_mul_i32 s0, s14, s19
	s_mul_i32 s1, s18, s14
	s_sub_i32 s15, s6, s0
	s_lshl_b32 s0, s1, 6
	s_lshl_b32 s1, s15, 12
	s_add_i32 s1, s1, s0
	v_add_u32_e32 v12, s1, v0
	v_ashrrev_i32_e32 v13, 31, v12
	v_lshlrev_b64 v[2:3], 2, v[12:13]
	v_add_co_u32_e32 v2, vcc, s10, v2
	v_addc_co_u32_e32 v3, vcc, v4, v3, vcc
	v_add_u32_e32 v4, 0x400, v12
	v_ashrrev_i32_e32 v5, 31, v4
	v_lshlrev_b64 v[4:5], 2, v[4:5]
	v_mov_b32_e32 v1, s11
	v_add_co_u32_e32 v46, vcc, s10, v4
	v_add_u32_e32 v4, 0x440, v12
	v_addc_co_u32_e32 v47, vcc, v1, v5, vcc
	v_ashrrev_i32_e32 v5, 31, v4
	v_lshlrev_b64 v[4:5], 2, v[4:5]
	v_add_co_u32_e32 v48, vcc, s10, v4
	v_add_u32_e32 v4, 0x480, v12
	v_addc_co_u32_e32 v49, vcc, v1, v5, vcc
	v_ashrrev_i32_e32 v5, 31, v4
	v_lshlrev_b64 v[4:5], 2, v[4:5]
	;; [unrolled: 5-line block ×43, first 2 shown]
	v_add_u32_e32 v6, 0xf00, v12
	v_add_co_u32_e32 v4, vcc, s10, v4
	v_ashrrev_i32_e32 v7, 31, v6
	v_addc_co_u32_e32 v5, vcc, v1, v5, vcc
	v_lshlrev_b64 v[6:7], 2, v[6:7]
	v_add_u32_e32 v8, 0xf40, v12
	v_add_co_u32_e32 v6, vcc, s10, v6
	v_ashrrev_i32_e32 v9, 31, v8
	v_addc_co_u32_e32 v7, vcc, v1, v7, vcc
	v_lshlrev_b64 v[8:9], 2, v[8:9]
	;; [unrolled: 5-line block ×3, first 2 shown]
	v_add_co_u32_e32 v10, vcc, s10, v52
	v_mov_b32_e32 v14, v12
	v_add_u32_e32 v52, 0xfc0, v12
	s_load_dwordx8 s[0:7], s[4:5], 0x10
	v_addc_co_u32_e32 v11, vcc, v1, v53, vcc
	buffer_store_dword v14, off, s[20:23], 0 ; 4-byte Folded Spill
	s_nop 0
	buffer_store_dword v15, off, s[20:23], 0 offset:4 ; 4-byte Folded Spill
	v_ashrrev_i32_e32 v53, 31, v52
	v_lshlrev_b64 v[52:53], 2, v[52:53]
	v_lshl_add_u32 v14, s15, 6, v0
	v_add_co_u32_e32 v12, vcc, s10, v52
	v_ashrrev_i32_e32 v15, 31, v14
	v_addc_co_u32_e32 v13, vcc, v1, v53, vcc
	v_lshlrev_b64 v[52:53], 2, v[14:15]
	s_waitcnt lgkmcnt(0)
	v_mov_b32_e32 v1, s7
	v_add_co_u32_e32 v16, vcc, s6, v52
	v_addc_co_u32_e32 v17, vcc, v1, v53, vcc
	global_load_dword v80, v[2:3], off
	global_load_dword v81, v[2:3], off offset:256
	global_load_dword v78, v[2:3], off offset:512
	;; [unrolled: 1-line block ×15, first 2 shown]
	global_load_dword v64, v[46:47], off
	global_load_dword v65, v[48:49], off
	;; [unrolled: 1-line block ×6, first 2 shown]
	s_nop 0
	global_load_dword v58, v[18:19], off
	global_load_dword v59, v[20:21], off
	;; [unrolled: 1-line block ×14, first 2 shown]
	s_nop 0
	global_load_dword v44, v[82:83], off
	global_load_dword v45, v[84:85], off
	;; [unrolled: 1-line block ×28, first 2 shown]
	s_waitcnt vmcnt(63) expcnt(7) lgkmcnt(15)
	s_barrier
	global_load_dword v1, v[16:17], off
	s_abs_i32 s6, s16
	v_cvt_f32_u32_e32 v2, s6
	s_sub_i32 s15, 0, s6
	s_abs_i32 s11, s17
	s_xor_b32 s10, s17, s16
	v_rcp_iflag_f32_e32 v2, v2
	s_ashr_i32 s10, s10, 31
	v_lshlrev_b32_e32 v17, 2, v0
	v_mul_f32_e32 v2, 0x4f7ffffe, v2
	v_cvt_u32_f32_e32 v2, v2
	v_readfirstlane_b32 s7, v2
	s_mul_i32 s15, s15, s7
	s_mul_hi_u32 s15, s7, s15
	s_add_i32 s7, s7, s15
	s_mul_hi_u32 s7, s11, s7
	s_mul_i32 s15, s7, s6
	s_sub_i32 s11, s11, s15
	s_add_i32 s15, s7, 1
	s_sub_i32 s16, s11, s6
	s_cmp_ge_u32 s11, s6
	s_cselect_b32 s7, s15, s7
	s_cselect_b32 s11, s16, s11
	s_add_i32 s15, s7, 1
	s_cmp_ge_u32 s11, s6
	s_cselect_b32 s6, s15, s7
	s_xor_b32 s6, s6, s10
	s_sub_i32 s6, s6, s10
	s_mul_i32 s6, s6, s18
	s_mul_i32 s7, s6, s14
	s_add_i32 s14, s14, 1
	s_mul_i32 s6, s6, s14
	v_add_u32_e32 v87, s6, v14
	v_add_u32_e32 v82, s7, v14
	v_cmp_lt_i32_e32 vcc, v82, v87
	s_waitcnt vmcnt(0)
	ds_write_b32 v17, v1 offset:768
	s_waitcnt lgkmcnt(0)
	s_barrier
	s_and_saveexec_b64 s[6:7], vcc
	s_cbranch_execz .LBB0_4
; %bb.1:
	v_ashrrev_i32_e32 v83, 31, v82
	s_ashr_i32 s19, s18, 31
	v_add_u32_e32 v88, 0x100, v17
	v_add_u32_e32 v89, 0x200, v17
	v_lshlrev_b64 v[84:85], 2, v[82:83]
	s_lshl_b64 s[14:15], s[18:19], 2
	s_mov_b64 s[10:11], 0
	v_mov_b32_e32 v83, 0
.LBB0_2:                                ; =>This Inner Loop Header: Depth=1
	v_add_co_u32_e32 v0, vcc, s0, v84
	v_mov_b32_e32 v1, s1
	v_addc_co_u32_e32 v1, vcc, v1, v85, vcc
	s_barrier
	global_load_dword v0, v[0:1], off
	v_mov_b32_e32 v1, s5
	v_mov_b32_e32 v16, v80
	v_add_u32_e32 v82, s18, v82
	s_waitcnt vmcnt(0)
	ds_write_b32 v17, v0
	v_add_co_u32_e32 v0, vcc, s4, v84
	v_addc_co_u32_e32 v1, vcc, v1, v85, vcc
	global_load_dword v0, v[0:1], off
	v_mov_b32_e32 v1, s9
	s_waitcnt vmcnt(0)
	ds_write_b32 v88, v0
	v_add_co_u32_e32 v0, vcc, s8, v84
	v_addc_co_u32_e32 v1, vcc, v1, v85, vcc
	global_load_dword v0, v[0:1], off
	v_mov_b32_e32 v1, s3
	s_waitcnt vmcnt(0)
	ds_write_b32 v89, v0
	v_add_co_u32_e32 v0, vcc, s2, v84
	v_addc_co_u32_e32 v1, vcc, v1, v85, vcc
	s_waitcnt lgkmcnt(0)
	s_barrier
	global_load_dword v86, v[0:1], off
	ds_read_b128 v[12:15], v83 offset:256
	ds_read_b128 v[90:93], v83 offset:768
	ds_read_b128 v[94:97], v83
	ds_read_b128 v[8:11], v83 offset:16
	ds_read_b128 v[4:7], v83 offset:32
	;; [unrolled: 1-line block ×4, first 2 shown]
	s_waitcnt vmcnt(0) lgkmcnt(4)
	v_pk_mul_f32 v[94:95], v[86:87], v[94:95] op_sel_hi:[0,1]
	v_fmac_f32_e32 v16, v94, v90
	v_fma_f32 v90, v12, v16, 0
	v_mov_b32_e32 v12, v81
	v_fmac_f32_e32 v12, v95, v91
	v_fmac_f32_e32 v90, v13, v12
	v_pk_mul_f32 v[12:13], v[86:87], v[96:97] op_sel_hi:[0,1]
	v_mov_b32_e32 v16, v78
	v_fmac_f32_e32 v16, v12, v92
	v_fmac_f32_e32 v90, v14, v16
	v_mov_b32_e32 v14, v79
	v_fmac_f32_e32 v14, v13, v93
	s_waitcnt lgkmcnt(0)
	v_pk_fma_f32 v[80:81], v[80:81], v[98:99], v[94:95]
	v_fmac_f32_e32 v90, v15, v14
	v_pk_fma_f32 v[78:79], v[78:79], v[100:101], v[12:13]
	ds_read_b128 v[12:15], v83 offset:272
	ds_read_b128 v[92:95], v83 offset:784
	;; [unrolled: 1-line block ×3, first 2 shown]
	v_pk_mul_f32 v[8:9], v[86:87], v[8:9] op_sel_hi:[0,1]
	v_mov_b32_e32 v16, v76
	v_pk_mul_f32 v[4:5], v[86:87], v[4:5] op_sel_hi:[0,1]
	s_waitcnt lgkmcnt(1)
	v_fmac_f32_e32 v16, v8, v92
	v_fmac_f32_e32 v90, v12, v16
	v_mov_b32_e32 v12, v77
	v_fmac_f32_e32 v12, v9, v93
	s_waitcnt lgkmcnt(0)
	v_pk_fma_f32 v[76:77], v[76:77], v[96:97], v[8:9]
	v_pk_mul_f32 v[8:9], v[86:87], v[10:11] op_sel_hi:[0,1]
	v_mov_b32_e32 v10, v74
	v_fmac_f32_e32 v90, v13, v12
	v_fmac_f32_e32 v10, v8, v94
	;; [unrolled: 1-line block ×3, first 2 shown]
	v_mov_b32_e32 v10, v75
	v_fmac_f32_e32 v10, v9, v95
	v_fmac_f32_e32 v90, v15, v10
	v_pk_fma_f32 v[74:75], v[74:75], v[98:99], v[8:9]
	ds_read_b128 v[8:11], v83 offset:288
	ds_read_b128 v[12:15], v83 offset:800
	;; [unrolled: 1-line block ×3, first 2 shown]
	v_mov_b32_e32 v16, v72
	v_pk_mul_f32 v[0:1], v[86:87], v[0:1] op_sel_hi:[0,1]
	s_waitcnt lgkmcnt(1)
	v_fmac_f32_e32 v16, v4, v12
	v_fmac_f32_e32 v90, v8, v16
	v_mov_b32_e32 v8, v73
	v_fmac_f32_e32 v8, v5, v13
	s_waitcnt lgkmcnt(0)
	v_pk_fma_f32 v[72:73], v[72:73], v[92:93], v[4:5]
	v_pk_mul_f32 v[4:5], v[86:87], v[6:7] op_sel_hi:[0,1]
	v_mov_b32_e32 v6, v70
	v_fmac_f32_e32 v90, v9, v8
	v_fmac_f32_e32 v6, v4, v14
	;; [unrolled: 1-line block ×3, first 2 shown]
	v_mov_b32_e32 v6, v71
	v_fmac_f32_e32 v6, v5, v15
	v_fmac_f32_e32 v90, v11, v6
	v_pk_fma_f32 v[70:71], v[70:71], v[94:95], v[4:5]
	ds_read_b128 v[4:7], v83 offset:304
	ds_read_b128 v[8:11], v83 offset:816
	v_mov_b32_e32 v12, v68
	s_waitcnt lgkmcnt(0)
	v_fmac_f32_e32 v12, v0, v8
	v_fmac_f32_e32 v90, v4, v12
	ds_read_b128 v[12:15], v83 offset:560
	v_mov_b32_e32 v4, v69
	v_fmac_f32_e32 v4, v1, v9
	v_fmac_f32_e32 v90, v5, v4
	s_waitcnt lgkmcnt(0)
	v_pk_fma_f32 v[68:69], v[68:69], v[12:13], v[0:1]
	v_pk_mul_f32 v[0:1], v[86:87], v[2:3] op_sel_hi:[0,1]
	v_mov_b32_e32 v2, v66
	v_fmac_f32_e32 v2, v0, v10
	v_fmac_f32_e32 v90, v6, v2
	v_mov_b32_e32 v2, v67
	v_fmac_f32_e32 v2, v1, v11
	v_fmac_f32_e32 v90, v7, v2
	v_pk_fma_f32 v[66:67], v[66:67], v[14:15], v[0:1]
	ds_read_b128 v[0:3], v83 offset:320
	ds_read_b128 v[4:7], v83 offset:832
	ds_read_b128 v[8:11], v83 offset:64
	v_mov_b32_e32 v12, v64
	s_waitcnt lgkmcnt(0)
	v_pk_mul_f32 v[8:9], v[86:87], v[8:9] op_sel_hi:[0,1]
	v_fmac_f32_e32 v12, v8, v4
	v_fmac_f32_e32 v90, v0, v12
	v_mov_b32_e32 v0, v65
	v_fmac_f32_e32 v0, v9, v5
	ds_read_b128 v[12:15], v83 offset:576
	v_fmac_f32_e32 v90, v1, v0
	v_pk_mul_f32 v[0:1], v[86:87], v[10:11] op_sel_hi:[0,1]
	v_mov_b32_e32 v4, v62
	v_fmac_f32_e32 v4, v0, v6
	v_fmac_f32_e32 v90, v2, v4
	v_mov_b32_e32 v2, v63
	v_fmac_f32_e32 v2, v1, v7
	s_waitcnt lgkmcnt(0)
	v_pk_fma_f32 v[64:65], v[64:65], v[12:13], v[8:9]
	v_fmac_f32_e32 v90, v3, v2
	v_pk_fma_f32 v[62:63], v[62:63], v[14:15], v[0:1]
	ds_read_b128 v[0:3], v83 offset:336
	ds_read_b128 v[4:7], v83 offset:848
	ds_read_b128 v[8:11], v83 offset:80
	v_mov_b32_e32 v12, v60
	s_waitcnt lgkmcnt(0)
	v_pk_mul_f32 v[8:9], v[86:87], v[8:9] op_sel_hi:[0,1]
	v_fmac_f32_e32 v12, v8, v4
	v_fmac_f32_e32 v90, v0, v12
	v_mov_b32_e32 v0, v61
	v_fmac_f32_e32 v0, v9, v5
	ds_read_b128 v[12:15], v83 offset:592
	v_fmac_f32_e32 v90, v1, v0
	v_pk_mul_f32 v[0:1], v[86:87], v[10:11] op_sel_hi:[0,1]
	v_mov_b32_e32 v4, v58
	v_fmac_f32_e32 v4, v0, v6
	v_fmac_f32_e32 v90, v2, v4
	v_mov_b32_e32 v2, v59
	v_fmac_f32_e32 v2, v1, v7
	s_waitcnt lgkmcnt(0)
	v_pk_fma_f32 v[60:61], v[60:61], v[12:13], v[8:9]
	;; [unrolled: 22-line block ×8, first 2 shown]
	v_fmac_f32_e32 v90, v3, v2
	v_pk_fma_f32 v[34:35], v[34:35], v[14:15], v[0:1]
	ds_read_b128 v[0:3], v83 offset:448
	ds_read_b128 v[4:7], v83 offset:960
	;; [unrolled: 1-line block ×3, first 2 shown]
	v_mov_b32_e32 v12, v32
	s_waitcnt lgkmcnt(0)
	v_pk_mul_f32 v[8:9], v[86:87], v[8:9] op_sel_hi:[0,1]
	v_fmac_f32_e32 v12, v8, v4
	v_fmac_f32_e32 v90, v0, v12
	v_mov_b32_e32 v0, v33
	v_fmac_f32_e32 v0, v9, v5
	ds_read_b128 v[12:15], v83 offset:704
	v_fmac_f32_e32 v90, v1, v0
	v_pk_mul_f32 v[0:1], v[86:87], v[10:11] op_sel_hi:[0,1]
	v_mov_b32_e32 v4, v30
	v_fmac_f32_e32 v4, v0, v6
	v_fmac_f32_e32 v90, v2, v4
	v_mov_b32_e32 v2, v31
	v_fmac_f32_e32 v2, v1, v7
	v_fmac_f32_e32 v90, v3, v2
	s_waitcnt lgkmcnt(0)
	v_pk_fma_f32 v[30:31], v[30:31], v[14:15], v[0:1]
	ds_read_b128 v[0:3], v83 offset:208
	v_pk_fma_f32 v[32:33], v[32:33], v[12:13], v[8:9]
	ds_read_b128 v[4:7], v83 offset:464
	ds_read_b128 v[8:11], v83 offset:976
	;; [unrolled: 1-line block ×3, first 2 shown]
	s_waitcnt lgkmcnt(3)
	v_pk_mul_f32 v[0:1], v[86:87], v[0:1] op_sel_hi:[0,1]
	s_waitcnt lgkmcnt(1)
	v_pk_fma_f32 v[8:9], v[0:1], v[8:9], v[28:29]
	v_pk_mul_f32 v[4:5], v[4:5], v[8:9]
	s_waitcnt lgkmcnt(0)
	v_pk_fma_f32 v[28:29], v[28:29], v[12:13], v[0:1]
	v_pk_mul_f32 v[0:1], v[86:87], v[2:3] op_sel_hi:[0,1]
	v_add_f32_e32 v4, v90, v4
	v_pk_fma_f32 v[2:3], v[0:1], v[10:11], v[26:27]
	v_add_f32_e32 v4, v4, v5
	v_pk_mul_f32 v[2:3], v[6:7], v[2:3]
	v_add_f32_e32 v2, v4, v2
	v_add_f32_e32 v12, v2, v3
	v_pk_fma_f32 v[26:27], v[26:27], v[14:15], v[0:1]
	ds_read_b128 v[0:3], v83 offset:224
	ds_read_b128 v[4:7], v83 offset:480
	;; [unrolled: 1-line block ×3, first 2 shown]
	s_waitcnt lgkmcnt(2)
	v_pk_mul_f32 v[0:1], v[86:87], v[0:1] op_sel_hi:[0,1]
	s_waitcnt lgkmcnt(0)
	v_pk_fma_f32 v[8:9], v[0:1], v[8:9], v[24:25]
	v_pk_mul_f32 v[4:5], v[4:5], v[8:9]
	v_add_f32_e32 v4, v12, v4
	ds_read_b128 v[12:15], v83 offset:736
	v_add_f32_e32 v4, v4, v5
	s_waitcnt lgkmcnt(0)
	v_pk_fma_f32 v[24:25], v[24:25], v[12:13], v[0:1]
	v_pk_mul_f32 v[0:1], v[86:87], v[2:3] op_sel_hi:[0,1]
	v_pk_fma_f32 v[2:3], v[0:1], v[10:11], v[22:23]
	v_pk_mul_f32 v[2:3], v[6:7], v[2:3]
	v_add_f32_e32 v2, v4, v2
	v_add_f32_e32 v12, v2, v3
	v_pk_fma_f32 v[22:23], v[22:23], v[14:15], v[0:1]
	ds_read_b128 v[0:3], v83 offset:240
	ds_read_b128 v[4:7], v83 offset:496
	;; [unrolled: 1-line block ×3, first 2 shown]
	s_waitcnt lgkmcnt(2)
	v_pk_mul_f32 v[0:1], v[86:87], v[0:1] op_sel_hi:[0,1]
	s_waitcnt lgkmcnt(0)
	v_pk_fma_f32 v[8:9], v[0:1], v[8:9], v[20:21]
	v_pk_mul_f32 v[4:5], v[4:5], v[8:9]
	v_add_f32_e32 v4, v12, v4
	ds_read_b128 v[12:15], v83 offset:752
	v_add_f32_e32 v4, v4, v5
	s_waitcnt lgkmcnt(0)
	v_pk_fma_f32 v[20:21], v[20:21], v[12:13], v[0:1]
	v_pk_mul_f32 v[0:1], v[86:87], v[2:3] op_sel_hi:[0,1]
	v_pk_fma_f32 v[2:3], v[0:1], v[10:11], v[18:19]
	v_pk_mul_f32 v[2:3], v[6:7], v[2:3]
	v_add_f32_e32 v2, v4, v2
	v_pk_fma_f32 v[18:19], v[18:19], v[14:15], v[0:1]
	v_add_co_u32_e32 v0, vcc, s12, v84
	v_mov_b32_e32 v1, s13
	v_add_f32_e32 v2, v2, v3
	v_addc_co_u32_e32 v1, vcc, v1, v85, vcc
	global_store_dword v[0:1], v2, off
	v_add_co_u32_e32 v84, vcc, s14, v84
	v_mov_b32_e32 v0, s15
	v_addc_co_u32_e32 v85, vcc, v85, v0, vcc
	v_cmp_ge_i32_e32 vcc, v82, v87
	s_or_b64 s[10:11], vcc, s[10:11]
	s_andn2_b64 exec, exec, s[10:11]
	s_cbranch_execnz .LBB0_2
; %bb.3:
	s_or_b64 exec, exec, s[10:11]
.LBB0_4:
	s_or_b64 exec, exec, s[6:7]
	buffer_load_dword v0, off, s[20:23], 0  ; 4-byte Folded Reload
	buffer_load_dword v1, off, s[20:23], 0 offset:4 ; 4-byte Folded Reload
	s_mul_i32 s0, s18, s17
	s_waitcnt vmcnt(1)
	v_add_u32_e32 v0, s0, v0
	s_waitcnt vmcnt(0)
	v_ashrrev_i32_e32 v1, 31, v0
	v_lshlrev_b64 v[2:3], 2, v[0:1]
	v_mov_b32_e32 v1, s13
	v_add_co_u32_e32 v2, vcc, s12, v2
	v_addc_co_u32_e32 v3, vcc, v1, v3, vcc
	global_store_dword v[2:3], v80, off
	global_store_dword v[2:3], v81, off offset:256
	global_store_dword v[2:3], v78, off offset:512
	;; [unrolled: 1-line block ×15, first 2 shown]
	v_add_u32_e32 v2, 0x400, v0
	v_ashrrev_i32_e32 v3, 31, v2
	v_lshlrev_b64 v[2:3], 2, v[2:3]
	v_add_co_u32_e32 v2, vcc, s12, v2
	v_addc_co_u32_e32 v3, vcc, v1, v3, vcc
	global_store_dword v[2:3], v64, off
	v_add_u32_e32 v2, 0x440, v0
	v_ashrrev_i32_e32 v3, 31, v2
	v_lshlrev_b64 v[2:3], 2, v[2:3]
	v_add_co_u32_e32 v2, vcc, s12, v2
	v_addc_co_u32_e32 v3, vcc, v1, v3, vcc
	global_store_dword v[2:3], v65, off
	;; [unrolled: 6-line block ×46, first 2 shown]
	v_add_u32_e32 v2, 0xf80, v0
	v_ashrrev_i32_e32 v3, 31, v2
	v_lshlrev_b64 v[2:3], 2, v[2:3]
	v_add_co_u32_e32 v2, vcc, s12, v2
	v_add_u32_e32 v0, 0xfc0, v0
	v_addc_co_u32_e32 v3, vcc, v1, v3, vcc
	v_ashrrev_i32_e32 v1, 31, v0
	v_lshlrev_b64 v[0:1], 2, v[0:1]
	global_store_dword v[2:3], v18, off
	v_mov_b32_e32 v2, s13
	v_add_co_u32_e32 v0, vcc, s12, v0
	v_addc_co_u32_e32 v1, vcc, v2, v1, vcc
	global_store_dword v[0:1], v19, off
	s_endpgm
	.section	.rodata,"a",@progbits
	.p2align	6, 0x0
	.amdhsa_kernel _ZL12rwkv_wkv_f32ILi64EEviiiiPKfS1_S1_S1_S1_S1_Pf
		.amdhsa_group_segment_fixed_size 1024
		.amdhsa_private_segment_fixed_size 12
		.amdhsa_kernarg_size 72
		.amdhsa_user_sgpr_count 6
		.amdhsa_user_sgpr_private_segment_buffer 1
		.amdhsa_user_sgpr_dispatch_ptr 0
		.amdhsa_user_sgpr_queue_ptr 0
		.amdhsa_user_sgpr_kernarg_segment_ptr 1
		.amdhsa_user_sgpr_dispatch_id 0
		.amdhsa_user_sgpr_flat_scratch_init 0
		.amdhsa_user_sgpr_kernarg_preload_length 0
		.amdhsa_user_sgpr_kernarg_preload_offset 0
		.amdhsa_user_sgpr_private_segment_size 0
		.amdhsa_uses_dynamic_stack 0
		.amdhsa_system_sgpr_private_segment_wavefront_offset 1
		.amdhsa_system_sgpr_workgroup_id_x 1
		.amdhsa_system_sgpr_workgroup_id_y 0
		.amdhsa_system_sgpr_workgroup_id_z 0
		.amdhsa_system_sgpr_workgroup_info 0
		.amdhsa_system_vgpr_workitem_id 0
		.amdhsa_next_free_vgpr 128
		.amdhsa_next_free_sgpr 24
		.amdhsa_accum_offset 128
		.amdhsa_reserve_vcc 1
		.amdhsa_reserve_flat_scratch 0
		.amdhsa_float_round_mode_32 0
		.amdhsa_float_round_mode_16_64 0
		.amdhsa_float_denorm_mode_32 3
		.amdhsa_float_denorm_mode_16_64 3
		.amdhsa_dx10_clamp 1
		.amdhsa_ieee_mode 1
		.amdhsa_fp16_overflow 0
		.amdhsa_tg_split 0
		.amdhsa_exception_fp_ieee_invalid_op 0
		.amdhsa_exception_fp_denorm_src 0
		.amdhsa_exception_fp_ieee_div_zero 0
		.amdhsa_exception_fp_ieee_overflow 0
		.amdhsa_exception_fp_ieee_underflow 0
		.amdhsa_exception_fp_ieee_inexact 0
		.amdhsa_exception_int_div_zero 0
	.end_amdhsa_kernel
	.section	.text._ZL12rwkv_wkv_f32ILi64EEviiiiPKfS1_S1_S1_S1_S1_Pf,"axG",@progbits,_ZL12rwkv_wkv_f32ILi64EEviiiiPKfS1_S1_S1_S1_S1_Pf,comdat
.Lfunc_end0:
	.size	_ZL12rwkv_wkv_f32ILi64EEviiiiPKfS1_S1_S1_S1_S1_Pf, .Lfunc_end0-_ZL12rwkv_wkv_f32ILi64EEviiiiPKfS1_S1_S1_S1_S1_Pf
                                        ; -- End function
	.section	.AMDGPU.csdata,"",@progbits
; Kernel info:
; codeLenInByte = 6408
; NumSgprs: 28
; NumVgprs: 128
; NumAgprs: 0
; TotalNumVgprs: 128
; ScratchSize: 12
; MemoryBound: 0
; FloatMode: 240
; IeeeMode: 1
; LDSByteSize: 1024 bytes/workgroup (compile time only)
; SGPRBlocks: 3
; VGPRBlocks: 15
; NumSGPRsForWavesPerEU: 28
; NumVGPRsForWavesPerEU: 128
; AccumOffset: 128
; Occupancy: 4
; WaveLimiterHint : 1
; COMPUTE_PGM_RSRC2:SCRATCH_EN: 1
; COMPUTE_PGM_RSRC2:USER_SGPR: 6
; COMPUTE_PGM_RSRC2:TRAP_HANDLER: 0
; COMPUTE_PGM_RSRC2:TGID_X_EN: 1
; COMPUTE_PGM_RSRC2:TGID_Y_EN: 0
; COMPUTE_PGM_RSRC2:TGID_Z_EN: 0
; COMPUTE_PGM_RSRC2:TIDIG_COMP_CNT: 0
; COMPUTE_PGM_RSRC3_GFX90A:ACCUM_OFFSET: 31
; COMPUTE_PGM_RSRC3_GFX90A:TG_SPLIT: 0
	.section	.text._ZL12rwkv_wkv_f32ILi128EEviiiiPKfS1_S1_S1_S1_S1_Pf,"axG",@progbits,_ZL12rwkv_wkv_f32ILi128EEviiiiPKfS1_S1_S1_S1_S1_Pf,comdat
	.globl	_ZL12rwkv_wkv_f32ILi128EEviiiiPKfS1_S1_S1_S1_S1_Pf ; -- Begin function _ZL12rwkv_wkv_f32ILi128EEviiiiPKfS1_S1_S1_S1_S1_Pf
	.p2align	8
	.type	_ZL12rwkv_wkv_f32ILi128EEviiiiPKfS1_S1_S1_S1_S1_Pf,@function
_ZL12rwkv_wkv_f32ILi128EEviiiiPKfS1_S1_S1_S1_S1_Pf: ; @_ZL12rwkv_wkv_f32ILi128EEviiiiPKfS1_S1_S1_S1_S1_Pf
; %bb.0:
	s_mov_b64 s[30:31], s[2:3]
	s_mov_b64 s[28:29], s[0:1]
	s_load_dwordx4 s[0:3], s[4:5], 0x0
	s_load_dwordx8 s[16:23], s[4:5], 0x10
	s_load_dwordx8 s[8:15], s[4:5], 0x30
	s_add_u32 s28, s28, s7
	s_addc_u32 s29, s29, 0
	s_waitcnt lgkmcnt(0)
	s_abs_i32 s7, s3
	v_cvt_f32_u32_e32 v1, s7
	s_sub_i32 s14, 0, s7
	s_abs_i32 s5, s6
	s_xor_b32 s4, s6, s3
	v_rcp_iflag_f32_e32 v1, v1
	s_ashr_i32 s4, s4, 31
	v_mul_f32_e32 v1, 0x4f7ffffe, v1
	v_cvt_u32_f32_e32 v1, v1
	v_readfirstlane_b32 s15, v1
	s_mul_i32 s14, s14, s15
	s_mul_hi_u32 s14, s15, s14
	s_add_i32 s15, s15, s14
	s_mul_hi_u32 s14, s5, s15
	s_mul_i32 s15, s14, s7
	s_sub_i32 s5, s5, s15
	s_add_i32 s15, s14, 1
	s_sub_i32 s24, s5, s7
	s_cmp_ge_u32 s5, s7
	s_cselect_b32 s14, s15, s14
	s_cselect_b32 s5, s24, s5
	s_add_i32 s15, s14, 1
	s_cmp_ge_u32 s5, s7
	s_cselect_b32 s5, s15, s14
	s_xor_b32 s5, s5, s4
	s_sub_i32 s4, s5, s4
	s_mul_i32 s3, s4, s3
	s_sub_i32 s3, s6, s3
	s_mul_i32 s5, s2, s4
	s_lshl_b32 s5, s5, 7
	s_lshl_b32 s6, s3, 14
	s_add_i32 s6, s6, s5
	v_add_u32_e32 v6, s6, v0
	v_ashrrev_i32_e32 v7, 31, v6
	v_lshlrev_b64 v[2:3], 2, v[6:7]
	v_add_co_u32_e32 v2, vcc, s10, v2
	v_mov_b32_e32 v1, s11
	v_addc_co_u32_e32 v3, vcc, v1, v3, vcc
	global_load_dword v8, v[2:3], off
	global_load_dword v9, v[2:3], off offset:512
	global_load_dword v10, v[2:3], off offset:1024
	;; [unrolled: 1-line block ×5, first 2 shown]
                                        ; kill: killed $vgpr2 killed $vgpr3
	s_xor_b32 s5, s1, s0
	s_abs_i32 s0, s0
	s_sub_i32 s7, 0, s0
	s_abs_i32 s6, s1
	s_ashr_i32 s5, s5, 31
	s_waitcnt vmcnt(0)
	buffer_store_dword v4, off, s[28:31], 0 offset:24 ; 4-byte Folded Spill
	s_nop 0
	buffer_store_dword v5, off, s[28:31], 0 offset:28 ; 4-byte Folded Spill
	global_load_dword v4, v[2:3], off offset:3072
	s_nop 0
	global_load_dword v5, v[2:3], off offset:3584
	v_add_u32_e32 v2, 0x400, v6
	v_ashrrev_i32_e32 v3, 31, v2
	v_lshlrev_b64 v[2:3], 2, v[2:3]
	v_add_co_u32_e32 v2, vcc, s10, v2
	v_addc_co_u32_e32 v3, vcc, v1, v3, vcc
	s_waitcnt vmcnt(0)
	buffer_store_dword v4, off, s[28:31], 0 offset:32 ; 4-byte Folded Spill
	s_nop 0
	buffer_store_dword v5, off, s[28:31], 0 offset:36 ; 4-byte Folded Spill
	global_load_dword v4, v[2:3], off
	v_add_u32_e32 v2, 0x480, v6
	v_ashrrev_i32_e32 v3, 31, v2
	v_lshlrev_b64 v[2:3], 2, v[2:3]
	v_add_co_u32_e32 v2, vcc, s10, v2
	v_addc_co_u32_e32 v3, vcc, v1, v3, vcc
	global_load_dword v5, v[2:3], off
	v_add_u32_e32 v2, 0x500, v6
	v_ashrrev_i32_e32 v3, 31, v2
	v_lshlrev_b64 v[2:3], 2, v[2:3]
	v_add_co_u32_e32 v2, vcc, s10, v2
	v_addc_co_u32_e32 v3, vcc, v1, v3, vcc
	s_waitcnt vmcnt(0)
	buffer_store_dword v4, off, s[28:31], 0 offset:40 ; 4-byte Folded Spill
	s_nop 0
	buffer_store_dword v5, off, s[28:31], 0 offset:44 ; 4-byte Folded Spill
	global_load_dword v4, v[2:3], off
	v_add_u32_e32 v2, 0x580, v6
	v_ashrrev_i32_e32 v3, 31, v2
	v_lshlrev_b64 v[2:3], 2, v[2:3]
	v_add_co_u32_e32 v2, vcc, s10, v2
	v_addc_co_u32_e32 v3, vcc, v1, v3, vcc
	global_load_dword v5, v[2:3], off
	;; [unrolled: 16-line block ×4, first 2 shown]
	v_add_u32_e32 v2, 0x800, v6
	v_ashrrev_i32_e32 v3, 31, v2
	v_lshlrev_b64 v[2:3], 2, v[2:3]
	v_add_co_u32_e32 v2, vcc, s10, v2
	v_addc_co_u32_e32 v3, vcc, v1, v3, vcc
	global_load_dword v32, v[2:3], off
	v_add_u32_e32 v2, 0x880, v6
	v_ashrrev_i32_e32 v3, 31, v2
	v_lshlrev_b64 v[2:3], 2, v[2:3]
	v_add_co_u32_e32 v2, vcc, s10, v2
	v_addc_co_u32_e32 v3, vcc, v1, v3, vcc
	global_load_dword v33, v[2:3], off
	;; [unrolled: 6-line block ×112, first 2 shown]
	v_cvt_f32_u32_e32 v1, s0
	v_lshl_add_u32 v2, s3, 7, v0
	s_waitcnt vmcnt(0)
	buffer_store_dword v4, off, s[28:31], 0 offset:8 ; 4-byte Folded Spill
	s_nop 0
	buffer_store_dword v5, off, s[28:31], 0 offset:12 ; 4-byte Folded Spill
	v_rcp_iflag_f32_e32 v1, v1
	v_ashrrev_i32_e32 v3, 31, v2
	v_lshlrev_b64 v[4:5], 2, v[2:3]
	v_add_co_u32_e32 v4, vcc, s22, v4
	v_mul_f32_e32 v1, 0x4f7ffffe, v1
	v_cvt_u32_f32_e32 v1, v1
	s_barrier
	v_readfirstlane_b32 s10, v1
	v_mov_b32_e32 v1, s23
	v_addc_co_u32_e32 v5, vcc, v1, v5, vcc
	global_load_dword v1, v[4:5], off
	s_mul_i32 s7, s7, s10
	s_mul_hi_u32 s7, s10, s7
	s_add_i32 s10, s10, s7
	s_mul_hi_u32 s7, s6, s10
	s_mul_i32 s10, s7, s0
	s_sub_i32 s6, s6, s10
	s_add_i32 s10, s7, 1
	s_sub_i32 s11, s6, s0
	s_cmp_ge_u32 s6, s0
	s_cselect_b32 s7, s10, s7
	s_cselect_b32 s6, s11, s6
	s_add_i32 s10, s7, 1
	s_cmp_ge_u32 s6, s0
	s_cselect_b32 s0, s10, s7
	s_xor_b32 s0, s0, s5
	s_sub_i32 s0, s0, s5
	s_mul_i32 s0, s0, s2
	s_mul_i32 s3, s0, s4
	s_add_i32 s4, s4, 1
	v_lshlrev_b32_e32 v0, 2, v0
	s_mul_i32 s0, s0, s4
	v_add_u32_e32 v14, s3, v2
	buffer_store_dword v0, off, s[28:31], 0 offset:144 ; 4-byte Folded Spill
	s_waitcnt vmcnt(1)
	ds_write_b32 v0, v1 offset:1536
	v_add_u32_e32 v1, s0, v2
	v_cmp_lt_i32_e32 vcc, v14, v1
	s_waitcnt lgkmcnt(0)
	s_barrier
	s_and_saveexec_b64 s[4:5], vcc
	s_cbranch_execz .LBB1_4
; %bb.1:
	buffer_store_dword v6, off, s[28:31], 0 offset:160 ; 4-byte Folded Spill
	s_nop 0
	buffer_store_dword v7, off, s[28:31], 0 offset:164 ; 4-byte Folded Spill
	buffer_load_dword v0, off, s[28:31], 0 offset:144 ; 4-byte Folded Reload
	v_ashrrev_i32_e32 v15, 31, v14
	s_ashr_i32 s3, s2, 31
	s_lshl_b64 s[10:11], s[2:3], 2
	s_mov_b64 s[6:7], 0
	v_pk_mov_b32 v[46:47], v[22:23], v[22:23] op_sel:[0,1]
	s_waitcnt vmcnt(0)
	v_add_u32_e32 v2, 0x200, v0
	v_add_u32_e32 v0, 0x400, v0
	buffer_store_dword v2, off, s[28:31], 0 offset:152 ; 4-byte Folded Spill
	buffer_store_dword v0, off, s[28:31], 0 offset:156 ; 4-byte Folded Spill
	;; [unrolled: 1-line block ×3, first 2 shown]
	s_nop 0
	buffer_store_dword v11, off, s[28:31], 0 offset:76 ; 4-byte Folded Spill
	buffer_store_dword v8, off, s[28:31], 0 offset:56 ; 4-byte Folded Spill
	s_nop 0
	buffer_store_dword v9, off, s[28:31], 0 offset:60 ; 4-byte Folded Spill
	buffer_store_dword v18, off, s[28:31], 0 offset:80 ; 4-byte Folded Spill
	;; [unrolled: 3-line block ×3, first 2 shown]
	s_nop 0
	buffer_store_dword v21, off, s[28:31], 0 offset:68 ; 4-byte Folded Spill
	buffer_load_dword v8, off, s[28:31], 0 offset:8 ; 4-byte Folded Reload
	buffer_load_dword v9, off, s[28:31], 0 offset:12 ; 4-byte Folded Reload
	v_lshlrev_b64 v[2:3], 2, v[14:15]
	v_mov_b32_e32 v15, 0
	buffer_store_dword v1, off, s[28:31], 0 offset:148 ; 4-byte Folded Spill
.LBB1_2:                                ; =>This Inner Loop Header: Depth=1
	s_waitcnt vmcnt(1)
	buffer_store_dword v8, off, s[28:31], 0 offset:8 ; 4-byte Folded Spill
	s_nop 0
	buffer_store_dword v9, off, s[28:31], 0 offset:12 ; 4-byte Folded Spill
	buffer_store_dword v46, off, s[28:31], 0 offset:136 ; 4-byte Folded Spill
	s_nop 0
	buffer_store_dword v47, off, s[28:31], 0 offset:140 ; 4-byte Folded Spill
	buffer_store_dword v2, off, s[28:31], 0 ; 4-byte Folded Spill
	s_nop 0
	buffer_store_dword v3, off, s[28:31], 0 offset:4 ; 4-byte Folded Spill
	buffer_store_dword v126, off, s[28:31], 0 offset:128 ; 4-byte Folded Spill
	s_nop 0
	buffer_store_dword v127, off, s[28:31], 0 offset:132 ; 4-byte Folded Spill
	buffer_store_dword v30, off, s[28:31], 0 offset:120 ; 4-byte Folded Spill
	;; [unrolled: 3-line block ×6, first 2 shown]
	s_nop 0
	buffer_store_dword v43, off, s[28:31], 0 offset:92 ; 4-byte Folded Spill
	v_mov_b32_e32 v1, s17
	s_barrier
	v_pk_mov_b32 v[36:37], v[66:67], v[66:67] op_sel:[0,1]
	v_pk_mov_b32 v[66:67], v[56:57], v[56:57] op_sel:[0,1]
	v_pk_mov_b32 v[56:57], v[114:115], v[114:115] op_sel:[0,1]
	v_pk_mov_b32 v[114:115], v[104:105], v[104:105] op_sel:[0,1]
	v_pk_mov_b32 v[104:105], v[94:95], v[94:95] op_sel:[0,1]
	v_pk_mov_b32 v[94:95], v[84:85], v[84:85] op_sel:[0,1]
	v_pk_mov_b32 v[84:85], v[28:29], v[28:29] op_sel:[0,1]
	v_pk_mov_b32 v[46:47], v[76:77], v[76:77] op_sel:[0,1]
	v_pk_mov_b32 v[76:77], v[124:125], v[124:125] op_sel:[0,1]
	v_add_u32_e32 v14, s2, v14
	v_add_co_u32_e32 v0, vcc, s16, v2
	v_addc_co_u32_e32 v1, vcc, v1, v3, vcc
	global_load_dword v0, v[0:1], off
	s_nop 0
	buffer_load_dword v1, off, s[28:31], 0 offset:144 ; 4-byte Folded Reload
	s_waitcnt vmcnt(0)
	ds_write_b32 v1, v0
	v_add_co_u32_e32 v0, vcc, s20, v2
	v_mov_b32_e32 v1, s21
	v_addc_co_u32_e32 v1, vcc, v1, v3, vcc
	global_load_dword v0, v[0:1], off
	s_nop 0
	buffer_load_dword v1, off, s[28:31], 0 offset:152 ; 4-byte Folded Reload
	s_waitcnt vmcnt(0)
	ds_write_b32 v1, v0
	v_add_co_u32_e32 v0, vcc, s8, v2
	v_mov_b32_e32 v1, s9
	;; [unrolled: 8-line block ×3, first 2 shown]
	v_addc_co_u32_e32 v1, vcc, v1, v3, vcc
	s_waitcnt lgkmcnt(0)
	s_barrier
	global_load_dword v18, v[0:1], off
	ds_read_b128 v[20:23], v15 offset:512
	ds_read_b128 v[24:27], v15 offset:1536
	ds_read_b128 v[28:31], v15
	ds_read_b128 v[8:11], v15 offset:16
	ds_read_b128 v[4:7], v15 offset:32
	;; [unrolled: 1-line block ×3, first 2 shown]
	buffer_load_dword v42, off, s[28:31], 0 offset:56 ; 4-byte Folded Reload
	buffer_load_dword v43, off, s[28:31], 0 offset:60 ; 4-byte Folded Reload
	v_pk_mov_b32 v[2:3], v[32:33], v[32:33] op_sel:[0,1]
	v_pk_mov_b32 v[0:1], v[34:35], v[34:35] op_sel:[0,1]
	ds_read_b128 v[32:35], v15 offset:1024
	s_waitcnt vmcnt(2) lgkmcnt(4)
	v_pk_mul_f32 v[28:29], v[18:19], v[28:29] op_sel_hi:[0,1]
	s_waitcnt vmcnt(1)
	v_mov_b32_e32 v19, v42
	v_fmac_f32_e32 v19, v28, v24
	v_fma_f32 v19, v20, v19, 0
	s_waitcnt vmcnt(0)
	v_mov_b32_e32 v20, v43
	s_waitcnt lgkmcnt(0)
	v_pk_fma_f32 v[42:43], v[42:43], v[32:33], v[28:29]
	buffer_store_dword v42, off, s[28:31], 0 offset:56 ; 4-byte Folded Spill
	s_nop 0
	buffer_store_dword v43, off, s[28:31], 0 offset:60 ; 4-byte Folded Spill
	v_fmac_f32_e32 v20, v29, v25
	buffer_load_dword v32, off, s[28:31], 0 offset:24 ; 4-byte Folded Reload
	buffer_load_dword v33, off, s[28:31], 0 offset:28 ; 4-byte Folded Reload
	;; [unrolled: 1-line block ×4, first 2 shown]
	v_fmac_f32_e32 v19, v21, v20
	v_pk_mul_f32 v[20:21], v[18:19], v[30:31] op_sel_hi:[0,1]
	s_waitcnt vmcnt(1)
	v_mov_b32_e32 v24, v28
	v_fmac_f32_e32 v24, v20, v26
	v_fmac_f32_e32 v19, v22, v24
	s_waitcnt vmcnt(0)
	v_mov_b32_e32 v22, v29
	v_pk_fma_f32 v[28:29], v[28:29], v[34:35], v[20:21]
	v_fmac_f32_e32 v22, v21, v27
	buffer_store_dword v28, off, s[28:31], 0 offset:72 ; 4-byte Folded Spill
	s_nop 0
	buffer_store_dword v29, off, s[28:31], 0 offset:76 ; 4-byte Folded Spill
	v_fmac_f32_e32 v19, v23, v22
	ds_read_b128 v[20:23], v15 offset:528
	ds_read_b128 v[24:27], v15 offset:1552
	v_pk_mul_f32 v[8:9], v[18:19], v[8:9] op_sel_hi:[0,1]
	v_mov_b32_e32 v28, v32
	v_pk_mov_b32 v[34:35], v[0:1], v[0:1] op_sel:[0,1]
	s_waitcnt lgkmcnt(0)
	v_fmac_f32_e32 v28, v8, v24
	v_fmac_f32_e32 v19, v20, v28
	ds_read_b128 v[28:31], v15 offset:1040
	v_mov_b32_e32 v20, v33
	v_fmac_f32_e32 v20, v9, v25
	v_fmac_f32_e32 v19, v21, v20
	s_waitcnt lgkmcnt(0)
	v_pk_fma_f32 v[32:33], v[32:33], v[28:29], v[8:9]
	buffer_store_dword v32, off, s[28:31], 0 offset:24 ; 4-byte Folded Spill
	s_nop 0
	buffer_store_dword v33, off, s[28:31], 0 offset:28 ; 4-byte Folded Spill
	buffer_load_dword v0, off, s[28:31], 0 offset:32 ; 4-byte Folded Reload
	buffer_load_dword v1, off, s[28:31], 0 offset:36 ; 4-byte Folded Reload
	v_pk_mul_f32 v[8:9], v[18:19], v[10:11] op_sel_hi:[0,1]
	v_pk_mov_b32 v[32:33], v[2:3], v[2:3] op_sel:[0,1]
	v_pk_mov_b32 v[28:29], v[84:85], v[84:85] op_sel:[0,1]
	;; [unrolled: 1-line block ×8, first 2 shown]
	s_waitcnt vmcnt(1)
	v_mov_b32_e32 v10, v0
	v_fmac_f32_e32 v10, v8, v26
	v_fmac_f32_e32 v19, v22, v10
	s_waitcnt vmcnt(0)
	v_mov_b32_e32 v10, v1
	v_pk_fma_f32 v[0:1], v[0:1], v[30:31], v[8:9]
	buffer_store_dword v0, off, s[28:31], 0 offset:32 ; 4-byte Folded Spill
	s_nop 0
	buffer_store_dword v1, off, s[28:31], 0 offset:36 ; 4-byte Folded Spill
	buffer_load_dword v0, off, s[28:31], 0 offset:40 ; 4-byte Folded Reload
	s_nop 0
	buffer_load_dword v1, off, s[28:31], 0 offset:44 ; 4-byte Folded Reload
	v_fmac_f32_e32 v10, v9, v27
	v_fmac_f32_e32 v19, v23, v10
	ds_read_b128 v[8:11], v15 offset:544
	ds_read_b128 v[20:23], v15 offset:1568
	v_pk_mul_f32 v[4:5], v[18:19], v[4:5] op_sel_hi:[0,1]
	s_waitcnt vmcnt(1)
	v_mov_b32_e32 v24, v0
	s_waitcnt lgkmcnt(0)
	v_fmac_f32_e32 v24, v4, v20
	v_fmac_f32_e32 v19, v8, v24
	ds_read_b128 v[24:27], v15 offset:1056
	s_waitcnt vmcnt(0)
	v_mov_b32_e32 v8, v1
	v_fmac_f32_e32 v8, v5, v21
	v_fmac_f32_e32 v19, v9, v8
	s_waitcnt lgkmcnt(0)
	v_pk_fma_f32 v[0:1], v[0:1], v[24:25], v[4:5]
	buffer_store_dword v0, off, s[28:31], 0 offset:40 ; 4-byte Folded Spill
	s_nop 0
	buffer_store_dword v1, off, s[28:31], 0 offset:44 ; 4-byte Folded Spill
	buffer_load_dword v0, off, s[28:31], 0 offset:48 ; 4-byte Folded Reload
	s_nop 0
	buffer_load_dword v1, off, s[28:31], 0 offset:52 ; 4-byte Folded Reload
	v_pk_mul_f32 v[4:5], v[18:19], v[6:7] op_sel_hi:[0,1]
	s_waitcnt vmcnt(1)
	v_mov_b32_e32 v6, v0
	v_fmac_f32_e32 v6, v4, v22
	v_fmac_f32_e32 v19, v10, v6
	s_waitcnt vmcnt(0)
	v_mov_b32_e32 v6, v1
	v_pk_fma_f32 v[0:1], v[0:1], v[26:27], v[4:5]
	buffer_store_dword v0, off, s[28:31], 0 offset:48 ; 4-byte Folded Spill
	s_nop 0
	buffer_store_dword v1, off, s[28:31], 0 offset:52 ; 4-byte Folded Spill
	buffer_load_dword v2, off, s[28:31], 0 offset:16 ; 4-byte Folded Reload
	buffer_load_dword v3, off, s[28:31], 0 offset:20 ; 4-byte Folded Reload
	;; [unrolled: 1-line block ×12, first 2 shown]
	v_fmac_f32_e32 v6, v5, v23
	v_fmac_f32_e32 v19, v11, v6
	ds_read_b128 v[4:7], v15 offset:560
	ds_read_b128 v[8:11], v15 offset:1584
	v_pk_mul_f32 v[0:1], v[18:19], v[124:125] op_sel_hi:[0,1]
	v_pk_mov_b32 v[124:125], v[76:77], v[76:77] op_sel:[0,1]
	v_pk_mov_b32 v[76:77], v[46:47], v[46:47] op_sel:[0,1]
	s_waitcnt vmcnt(11)
	v_mov_b32_e32 v20, v2
	s_waitcnt lgkmcnt(0)
	v_fmac_f32_e32 v20, v0, v8
	v_fmac_f32_e32 v19, v4, v20
	ds_read_b128 v[20:23], v15 offset:1072
	s_waitcnt vmcnt(10)
	v_mov_b32_e32 v4, v3
	v_fmac_f32_e32 v4, v1, v9
	v_fmac_f32_e32 v19, v5, v4
	s_waitcnt lgkmcnt(0)
	v_pk_fma_f32 v[2:3], v[2:3], v[20:21], v[0:1]
	buffer_store_dword v2, off, s[28:31], 0 offset:16 ; 4-byte Folded Spill
	s_nop 0
	buffer_store_dword v3, off, s[28:31], 0 offset:20 ; 4-byte Folded Spill
	v_pk_mul_f32 v[0:1], v[18:19], v[126:127] op_sel_hi:[0,1]
	v_mov_b32_e32 v2, v48
	v_fmac_f32_e32 v2, v0, v10
	v_fmac_f32_e32 v19, v6, v2
	v_mov_b32_e32 v2, v49
	v_fmac_f32_e32 v2, v1, v11
	buffer_load_dword v126, off, s[28:31], 0 offset:128 ; 4-byte Folded Reload
	buffer_load_dword v127, off, s[28:31], 0 offset:132 ; 4-byte Folded Reload
	v_fmac_f32_e32 v19, v7, v2
	v_pk_fma_f32 v[48:49], v[48:49], v[22:23], v[0:1]
	ds_read_b128 v[0:3], v15 offset:576
	ds_read_b128 v[4:7], v15 offset:1600
	;; [unrolled: 1-line block ×3, first 2 shown]
	v_mov_b32_e32 v20, v32
	s_waitcnt lgkmcnt(0)
	v_pk_mul_f32 v[8:9], v[18:19], v[8:9] op_sel_hi:[0,1]
	v_fmac_f32_e32 v20, v8, v4
	v_fmac_f32_e32 v19, v0, v20
	v_mov_b32_e32 v0, v33
	v_fmac_f32_e32 v0, v9, v5
	v_fmac_f32_e32 v19, v1, v0
	ds_read_b128 v[20:23], v15 offset:1088
	v_pk_mul_f32 v[0:1], v[18:19], v[10:11] op_sel_hi:[0,1]
	v_mov_b32_e32 v4, v44
	v_fmac_f32_e32 v4, v0, v6
	v_fmac_f32_e32 v19, v2, v4
	v_mov_b32_e32 v2, v45
	v_fmac_f32_e32 v2, v1, v7
	s_waitcnt lgkmcnt(0)
	v_pk_fma_f32 v[32:33], v[32:33], v[20:21], v[8:9]
	v_fmac_f32_e32 v19, v3, v2
	v_pk_fma_f32 v[44:45], v[44:45], v[22:23], v[0:1]
	ds_read_b128 v[0:3], v15 offset:592
	ds_read_b128 v[4:7], v15 offset:1616
	;; [unrolled: 1-line block ×3, first 2 shown]
	v_mov_b32_e32 v20, v54
	s_waitcnt lgkmcnt(0)
	v_pk_mul_f32 v[8:9], v[18:19], v[8:9] op_sel_hi:[0,1]
	v_fmac_f32_e32 v20, v8, v4
	v_fmac_f32_e32 v19, v0, v20
	v_mov_b32_e32 v0, v55
	v_fmac_f32_e32 v0, v9, v5
	v_fmac_f32_e32 v19, v1, v0
	ds_read_b128 v[20:23], v15 offset:1104
	v_pk_mul_f32 v[0:1], v[18:19], v[10:11] op_sel_hi:[0,1]
	s_waitcnt vmcnt(13)
	v_mov_b32_e32 v4, v42
	v_fmac_f32_e32 v4, v0, v6
	v_fmac_f32_e32 v19, v2, v4
	s_waitcnt vmcnt(12)
	v_mov_b32_e32 v2, v43
	v_fmac_f32_e32 v2, v1, v7
	s_waitcnt lgkmcnt(0)
	v_pk_fma_f32 v[54:55], v[54:55], v[20:21], v[8:9]
	v_fmac_f32_e32 v19, v3, v2
	v_pk_fma_f32 v[42:43], v[42:43], v[22:23], v[0:1]
	ds_read_b128 v[0:3], v15 offset:608
	ds_read_b128 v[4:7], v15 offset:1632
	ds_read_b128 v[8:11], v15 offset:96
	v_mov_b32_e32 v20, v58
	s_waitcnt lgkmcnt(0)
	v_pk_mul_f32 v[8:9], v[18:19], v[8:9] op_sel_hi:[0,1]
	v_fmac_f32_e32 v20, v8, v4
	v_fmac_f32_e32 v19, v0, v20
	v_mov_b32_e32 v0, v59
	v_fmac_f32_e32 v0, v9, v5
	v_fmac_f32_e32 v19, v1, v0
	ds_read_b128 v[20:23], v15 offset:1120
	v_pk_mul_f32 v[0:1], v[18:19], v[10:11] op_sel_hi:[0,1]
	v_mov_b32_e32 v4, v50
	v_fmac_f32_e32 v4, v0, v6
	v_fmac_f32_e32 v19, v2, v4
	v_mov_b32_e32 v2, v51
	v_fmac_f32_e32 v2, v1, v7
	s_waitcnt lgkmcnt(0)
	v_pk_fma_f32 v[58:59], v[58:59], v[20:21], v[8:9]
	v_fmac_f32_e32 v19, v3, v2
	v_pk_fma_f32 v[50:51], v[50:51], v[22:23], v[0:1]
	ds_read_b128 v[0:3], v15 offset:624
	ds_read_b128 v[4:7], v15 offset:1648
	;; [unrolled: 1-line block ×3, first 2 shown]
	v_mov_b32_e32 v20, v52
	s_waitcnt lgkmcnt(0)
	v_pk_mul_f32 v[8:9], v[18:19], v[8:9] op_sel_hi:[0,1]
	v_fmac_f32_e32 v20, v8, v4
	v_fmac_f32_e32 v19, v0, v20
	v_mov_b32_e32 v0, v53
	v_fmac_f32_e32 v0, v9, v5
	v_fmac_f32_e32 v19, v1, v0
	ds_read_b128 v[20:23], v15 offset:1136
	v_pk_mul_f32 v[0:1], v[18:19], v[10:11] op_sel_hi:[0,1]
	v_mov_b32_e32 v4, v64
	v_fmac_f32_e32 v4, v0, v6
	v_fmac_f32_e32 v19, v2, v4
	v_mov_b32_e32 v2, v65
	v_fmac_f32_e32 v2, v1, v7
	s_waitcnt lgkmcnt(0)
	v_pk_fma_f32 v[52:53], v[52:53], v[20:21], v[8:9]
	v_fmac_f32_e32 v19, v3, v2
	v_pk_fma_f32 v[64:65], v[64:65], v[22:23], v[0:1]
	ds_read_b128 v[0:3], v15 offset:640
	ds_read_b128 v[4:7], v15 offset:1664
	;; [unrolled: 1-line block ×3, first 2 shown]
	s_waitcnt vmcnt(5)
	v_mov_b32_e32 v20, v36
	s_waitcnt lgkmcnt(0)
	v_pk_mul_f32 v[8:9], v[18:19], v[8:9] op_sel_hi:[0,1]
	v_fmac_f32_e32 v20, v8, v4
	v_fmac_f32_e32 v19, v0, v20
	s_waitcnt vmcnt(4)
	v_mov_b32_e32 v0, v37
	v_fmac_f32_e32 v0, v9, v5
	v_fmac_f32_e32 v19, v1, v0
	ds_read_b128 v[20:23], v15 offset:1152
	v_pk_mul_f32 v[0:1], v[18:19], v[10:11] op_sel_hi:[0,1]
	v_mov_b32_e32 v4, v68
	v_fmac_f32_e32 v4, v0, v6
	v_fmac_f32_e32 v19, v2, v4
	v_mov_b32_e32 v2, v69
	v_fmac_f32_e32 v2, v1, v7
	s_waitcnt lgkmcnt(0)
	v_pk_fma_f32 v[36:37], v[36:37], v[20:21], v[8:9]
	v_fmac_f32_e32 v19, v3, v2
	v_pk_fma_f32 v[68:69], v[68:69], v[22:23], v[0:1]
	ds_read_b128 v[0:3], v15 offset:656
	ds_read_b128 v[4:7], v15 offset:1680
	ds_read_b128 v[8:11], v15 offset:144
	v_mov_b32_e32 v20, v60
	s_waitcnt lgkmcnt(0)
	v_pk_mul_f32 v[8:9], v[18:19], v[8:9] op_sel_hi:[0,1]
	v_fmac_f32_e32 v20, v8, v4
	v_fmac_f32_e32 v19, v0, v20
	v_mov_b32_e32 v0, v61
	v_fmac_f32_e32 v0, v9, v5
	v_fmac_f32_e32 v19, v1, v0
	ds_read_b128 v[20:23], v15 offset:1168
	v_pk_mul_f32 v[0:1], v[18:19], v[10:11] op_sel_hi:[0,1]
	v_mov_b32_e32 v4, v62
	v_fmac_f32_e32 v4, v0, v6
	v_fmac_f32_e32 v19, v2, v4
	v_mov_b32_e32 v2, v63
	v_fmac_f32_e32 v2, v1, v7
	s_waitcnt lgkmcnt(0)
	v_pk_fma_f32 v[60:61], v[60:61], v[20:21], v[8:9]
	v_fmac_f32_e32 v19, v3, v2
	v_pk_fma_f32 v[62:63], v[62:63], v[22:23], v[0:1]
	ds_read_b128 v[0:3], v15 offset:672
	ds_read_b128 v[4:7], v15 offset:1696
	ds_read_b128 v[8:11], v15 offset:160
	v_mov_b32_e32 v20, v74
	s_waitcnt lgkmcnt(0)
	v_pk_mul_f32 v[8:9], v[18:19], v[8:9] op_sel_hi:[0,1]
	v_fmac_f32_e32 v20, v8, v4
	v_fmac_f32_e32 v19, v0, v20
	;; [unrolled: 22-line block ×20, first 2 shown]
	v_mov_b32_e32 v0, v125
	v_fmac_f32_e32 v0, v9, v5
	v_fmac_f32_e32 v19, v1, v0
	ds_read_b128 v[20:23], v15 offset:1472
	v_pk_mul_f32 v[0:1], v[18:19], v[10:11] op_sel_hi:[0,1]
	v_mov_b32_e32 v4, v26
	v_fmac_f32_e32 v4, v0, v6
	v_fmac_f32_e32 v19, v2, v4
	v_mov_b32_e32 v2, v27
	v_fmac_f32_e32 v2, v1, v7
	v_fmac_f32_e32 v19, v3, v2
	s_waitcnt lgkmcnt(0)
	v_pk_fma_f32 v[26:27], v[26:27], v[22:23], v[0:1]
	ds_read_b128 v[0:3], v15 offset:464
	v_pk_fma_f32 v[124:125], v[124:125], v[20:21], v[8:9]
	ds_read_b128 v[4:7], v15 offset:976
	ds_read_b128 v[8:11], v15 offset:2000
	;; [unrolled: 1-line block ×3, first 2 shown]
	s_waitcnt lgkmcnt(3)
	v_pk_mul_f32 v[0:1], v[18:19], v[0:1] op_sel_hi:[0,1]
	s_waitcnt lgkmcnt(1)
	v_pk_fma_f32 v[8:9], v[0:1], v[8:9], v[76:77]
	v_pk_mul_f32 v[4:5], v[4:5], v[8:9]
	s_waitcnt lgkmcnt(0)
	v_pk_fma_f32 v[76:77], v[76:77], v[20:21], v[0:1]
	v_pk_mul_f32 v[0:1], v[18:19], v[2:3] op_sel_hi:[0,1]
	v_add_f32_e32 v4, v19, v4
	s_waitcnt vmcnt(0)
	v_pk_fma_f32 v[2:3], v[0:1], v[10:11], v[126:127]
	v_add_f32_e32 v4, v4, v5
	v_pk_mul_f32 v[2:3], v[6:7], v[2:3]
	v_add_f32_e32 v2, v4, v2
	v_add_f32_e32 v19, v2, v3
	v_pk_fma_f32 v[126:127], v[126:127], v[22:23], v[0:1]
	ds_read_b128 v[0:3], v15 offset:480
	ds_read_b128 v[4:7], v15 offset:992
	;; [unrolled: 1-line block ×3, first 2 shown]
	buffer_load_dword v46, off, s[28:31], 0 offset:80 ; 4-byte Folded Reload
	buffer_load_dword v47, off, s[28:31], 0 offset:84 ; 4-byte Folded Reload
	ds_read_b128 v[20:23], v15 offset:1504
	s_waitcnt lgkmcnt(3)
	v_pk_mul_f32 v[0:1], v[18:19], v[0:1] op_sel_hi:[0,1]
	s_waitcnt vmcnt(0) lgkmcnt(1)
	v_pk_fma_f32 v[8:9], v[0:1], v[8:9], v[46:47]
	s_waitcnt lgkmcnt(0)
	v_pk_fma_f32 v[46:47], v[46:47], v[20:21], v[0:1]
	buffer_store_dword v46, off, s[28:31], 0 offset:80 ; 4-byte Folded Spill
	s_nop 0
	buffer_store_dword v47, off, s[28:31], 0 offset:84 ; 4-byte Folded Spill
	v_pk_mul_f32 v[4:5], v[4:5], v[8:9]
	buffer_load_dword v46, off, s[28:31], 0 offset:136 ; 4-byte Folded Reload
	buffer_load_dword v47, off, s[28:31], 0 offset:140 ; 4-byte Folded Reload
	;; [unrolled: 1-line block ×4, first 2 shown]
	v_pk_mul_f32 v[0:1], v[18:19], v[2:3] op_sel_hi:[0,1]
	v_add_f32_e32 v4, v19, v4
	v_add_f32_e32 v4, v4, v5
	s_waitcnt vmcnt(0)
	v_pk_fma_f32 v[2:3], v[0:1], v[10:11], v[8:9]
	v_pk_mul_f32 v[2:3], v[6:7], v[2:3]
	v_pk_fma_f32 v[8:9], v[8:9], v[22:23], v[0:1]
	v_add_f32_e32 v2, v4, v2
	buffer_store_dword v8, off, s[28:31], 0 offset:64 ; 4-byte Folded Spill
	s_nop 0
	buffer_store_dword v9, off, s[28:31], 0 offset:68 ; 4-byte Folded Spill
	v_add_f32_e32 v19, v2, v3
	ds_read_b128 v[0:3], v15 offset:496
	ds_read_b128 v[4:7], v15 offset:1008
	;; [unrolled: 1-line block ×3, first 2 shown]
	s_waitcnt lgkmcnt(2)
	v_pk_mul_f32 v[0:1], v[18:19], v[0:1] op_sel_hi:[0,1]
	s_waitcnt lgkmcnt(0)
	v_pk_fma_f32 v[8:9], v[0:1], v[8:9], v[46:47]
	v_pk_mul_f32 v[4:5], v[4:5], v[8:9]
	buffer_load_dword v8, off, s[28:31], 0 offset:8 ; 4-byte Folded Reload
	buffer_load_dword v9, off, s[28:31], 0 offset:12 ; 4-byte Folded Reload
	ds_read_b128 v[20:23], v15 offset:1520
	v_add_f32_e32 v4, v19, v4
	v_add_f32_e32 v4, v4, v5
	s_waitcnt lgkmcnt(0)
	v_pk_fma_f32 v[46:47], v[46:47], v[20:21], v[0:1]
	v_pk_mul_f32 v[0:1], v[18:19], v[2:3] op_sel_hi:[0,1]
	s_waitcnt vmcnt(0)
	v_pk_fma_f32 v[2:3], v[0:1], v[10:11], v[8:9]
	v_pk_mul_f32 v[2:3], v[6:7], v[2:3]
	v_pk_fma_f32 v[8:9], v[8:9], v[22:23], v[0:1]
	buffer_load_dword v0, off, s[28:31], 0  ; 4-byte Folded Reload
	buffer_load_dword v1, off, s[28:31], 0 offset:4 ; 4-byte Folded Reload
	v_add_f32_e32 v2, v4, v2
	buffer_load_dword v4, off, s[28:31], 0  ; 4-byte Folded Reload
	buffer_load_dword v5, off, s[28:31], 0 offset:4 ; 4-byte Folded Reload
	s_waitcnt vmcnt(2)
	v_mov_b32_e32 v1, s13
	v_add_f32_e32 v2, v2, v3
	v_add_co_u32_e32 v0, vcc, s12, v0
	s_waitcnt vmcnt(0)
	v_addc_co_u32_e32 v1, vcc, v1, v5, vcc
	global_store_dword v[0:1], v2, off
	buffer_load_dword v2, off, s[28:31], 0  ; 4-byte Folded Reload
	s_nop 0
	buffer_load_dword v3, off, s[28:31], 0 offset:4 ; 4-byte Folded Reload
	buffer_load_dword v1, off, s[28:31], 0 offset:148 ; 4-byte Folded Reload
	v_mov_b32_e32 v0, s11
	s_waitcnt vmcnt(2)
	v_add_co_u32_e32 v2, vcc, s10, v2
	s_waitcnt vmcnt(1)
	v_addc_co_u32_e32 v3, vcc, v3, v0, vcc
	s_waitcnt vmcnt(0)
	v_cmp_ge_i32_e32 vcc, v14, v1
	s_or_b64 s[6:7], vcc, s[6:7]
	s_andn2_b64 exec, exec, s[6:7]
	s_cbranch_execnz .LBB1_2
; %bb.3:
	s_or_b64 exec, exec, s[6:7]
	buffer_store_dword v8, off, s[28:31], 0 offset:8 ; 4-byte Folded Spill
	s_nop 0
	buffer_store_dword v9, off, s[28:31], 0 offset:12 ; 4-byte Folded Spill
	buffer_load_dword v6, off, s[28:31], 0 offset:160 ; 4-byte Folded Reload
	buffer_load_dword v7, off, s[28:31], 0 offset:164 ; 4-byte Folded Reload
	buffer_load_dword v10, off, s[28:31], 0 offset:72 ; 4-byte Folded Reload
	buffer_load_dword v11, off, s[28:31], 0 offset:76 ; 4-byte Folded Reload
	s_nop 0
	buffer_load_dword v8, off, s[28:31], 0 offset:56 ; 4-byte Folded Reload
	buffer_load_dword v9, off, s[28:31], 0 offset:60 ; 4-byte Folded Reload
	;; [unrolled: 1-line block ×6, first 2 shown]
	v_pk_mov_b32 v[22:23], v[46:47], v[46:47] op_sel:[0,1]
.LBB1_4:
	s_or_b64 exec, exec, s[4:5]
	s_mul_i32 s0, s2, s1
	s_waitcnt vmcnt(9)
	v_add_u32_e32 v0, s0, v6
	v_ashrrev_i32_e32 v1, 31, v0
	v_lshlrev_b64 v[2:3], 2, v[0:1]
	v_mov_b32_e32 v4, s13
	v_add_co_u32_e32 v2, vcc, s12, v2
	v_addc_co_u32_e32 v3, vcc, v4, v3, vcc
	s_waitcnt vmcnt(5)
	global_store_dword v[2:3], v8, off
	s_waitcnt vmcnt(5)
	global_store_dword v[2:3], v9, off offset:512
	global_store_dword v[2:3], v10, off offset:1024
	;; [unrolled: 1-line block ×3, first 2 shown]
	buffer_load_dword v4, off, s[28:31], 0 offset:24 ; 4-byte Folded Reload
	buffer_load_dword v5, off, s[28:31], 0 offset:28 ; 4-byte Folded Reload
	v_mov_b32_e32 v1, s13
	s_waitcnt vmcnt(1)
	global_store_dword v[2:3], v4, off offset:2048
	s_waitcnt vmcnt(1)
	global_store_dword v[2:3], v5, off offset:2560
	buffer_load_dword v4, off, s[28:31], 0 offset:32 ; 4-byte Folded Reload
	s_nop 0
	buffer_load_dword v5, off, s[28:31], 0 offset:36 ; 4-byte Folded Reload
	s_waitcnt vmcnt(1)
	global_store_dword v[2:3], v4, off offset:3072
	s_waitcnt vmcnt(1)
	global_store_dword v[2:3], v5, off offset:3584
	buffer_load_dword v6, off, s[28:31], 0 offset:40 ; 4-byte Folded Reload
	buffer_load_dword v7, off, s[28:31], 0 offset:44 ; 4-byte Folded Reload
	v_add_u32_e32 v2, 0x400, v0
	v_ashrrev_i32_e32 v3, 31, v2
	v_lshlrev_b64 v[2:3], 2, v[2:3]
	v_add_u32_e32 v4, 0x480, v0
	v_add_co_u32_e32 v2, vcc, s12, v2
	v_ashrrev_i32_e32 v5, 31, v4
	v_addc_co_u32_e32 v3, vcc, v1, v3, vcc
	v_lshlrev_b64 v[4:5], 2, v[4:5]
	v_add_co_u32_e32 v4, vcc, s12, v4
	v_addc_co_u32_e32 v5, vcc, v1, v5, vcc
	s_waitcnt vmcnt(1)
	global_store_dword v[2:3], v6, off
	s_waitcnt vmcnt(1)
	global_store_dword v[4:5], v7, off
	buffer_load_dword v6, off, s[28:31], 0 offset:48 ; 4-byte Folded Reload
	s_nop 0
	buffer_load_dword v7, off, s[28:31], 0 offset:52 ; 4-byte Folded Reload
	v_add_u32_e32 v2, 0x500, v0
	v_ashrrev_i32_e32 v3, 31, v2
	v_lshlrev_b64 v[2:3], 2, v[2:3]
	v_add_u32_e32 v4, 0x580, v0
	v_add_co_u32_e32 v2, vcc, s12, v2
	v_ashrrev_i32_e32 v5, 31, v4
	v_addc_co_u32_e32 v3, vcc, v1, v3, vcc
	v_lshlrev_b64 v[4:5], 2, v[4:5]
	v_add_co_u32_e32 v4, vcc, s12, v4
	v_addc_co_u32_e32 v5, vcc, v1, v5, vcc
	s_waitcnt vmcnt(1)
	global_store_dword v[2:3], v6, off
	s_waitcnt vmcnt(1)
	global_store_dword v[4:5], v7, off
	buffer_load_dword v46, off, s[28:31], 0 offset:16 ; 4-byte Folded Reload
	buffer_load_dword v47, off, s[28:31], 0 offset:20 ; 4-byte Folded Reload
	v_add_u32_e32 v2, 0x600, v0
	v_ashrrev_i32_e32 v3, 31, v2
	v_lshlrev_b64 v[2:3], 2, v[2:3]
	v_add_co_u32_e32 v2, vcc, s12, v2
	v_addc_co_u32_e32 v3, vcc, v1, v3, vcc
	s_waitcnt vmcnt(1)
	global_store_dword v[2:3], v46, off
	v_add_u32_e32 v2, 0x680, v0
	v_ashrrev_i32_e32 v3, 31, v2
	v_lshlrev_b64 v[2:3], 2, v[2:3]
	v_add_co_u32_e32 v2, vcc, s12, v2
	v_addc_co_u32_e32 v3, vcc, v1, v3, vcc
	s_waitcnt vmcnt(1)
	global_store_dword v[2:3], v47, off
	v_add_u32_e32 v2, 0x700, v0
	v_ashrrev_i32_e32 v3, 31, v2
	v_lshlrev_b64 v[2:3], 2, v[2:3]
	v_add_co_u32_e32 v2, vcc, s12, v2
	v_addc_co_u32_e32 v3, vcc, v1, v3, vcc
	global_store_dword v[2:3], v48, off
	v_add_u32_e32 v2, 0x780, v0
	v_ashrrev_i32_e32 v3, 31, v2
	v_lshlrev_b64 v[2:3], 2, v[2:3]
	v_add_co_u32_e32 v2, vcc, s12, v2
	v_addc_co_u32_e32 v3, vcc, v1, v3, vcc
	;; [unrolled: 6-line block ×112, first 2 shown]
	global_store_dword v[2:3], v23, off
	buffer_load_dword v4, off, s[28:31], 0 offset:8 ; 4-byte Folded Reload
	buffer_load_dword v5, off, s[28:31], 0 offset:12 ; 4-byte Folded Reload
	v_add_u32_e32 v2, 0x3f00, v0
	v_ashrrev_i32_e32 v3, 31, v2
	v_lshlrev_b64 v[2:3], 2, v[2:3]
	v_add_co_u32_e32 v2, vcc, s12, v2
	v_add_u32_e32 v0, 0x3f80, v0
	v_addc_co_u32_e32 v3, vcc, v1, v3, vcc
	v_ashrrev_i32_e32 v1, 31, v0
	v_lshlrev_b64 v[0:1], 2, v[0:1]
	v_add_co_u32_e32 v0, vcc, s12, v0
	s_waitcnt vmcnt(1)
	global_store_dword v[2:3], v4, off
	v_mov_b32_e32 v2, s13
	v_addc_co_u32_e32 v1, vcc, v2, v1, vcc
	s_waitcnt vmcnt(1)
	global_store_dword v[0:1], v5, off
	s_endpgm
	.section	.rodata,"a",@progbits
	.p2align	6, 0x0
	.amdhsa_kernel _ZL12rwkv_wkv_f32ILi128EEviiiiPKfS1_S1_S1_S1_S1_Pf
		.amdhsa_group_segment_fixed_size 2048
		.amdhsa_private_segment_fixed_size 172
		.amdhsa_kernarg_size 72
		.amdhsa_user_sgpr_count 6
		.amdhsa_user_sgpr_private_segment_buffer 1
		.amdhsa_user_sgpr_dispatch_ptr 0
		.amdhsa_user_sgpr_queue_ptr 0
		.amdhsa_user_sgpr_kernarg_segment_ptr 1
		.amdhsa_user_sgpr_dispatch_id 0
		.amdhsa_user_sgpr_flat_scratch_init 0
		.amdhsa_user_sgpr_kernarg_preload_length 0
		.amdhsa_user_sgpr_kernarg_preload_offset 0
		.amdhsa_user_sgpr_private_segment_size 0
		.amdhsa_uses_dynamic_stack 0
		.amdhsa_system_sgpr_private_segment_wavefront_offset 1
		.amdhsa_system_sgpr_workgroup_id_x 1
		.amdhsa_system_sgpr_workgroup_id_y 0
		.amdhsa_system_sgpr_workgroup_id_z 0
		.amdhsa_system_sgpr_workgroup_info 0
		.amdhsa_system_vgpr_workitem_id 0
		.amdhsa_next_free_vgpr 128
		.amdhsa_next_free_sgpr 32
		.amdhsa_accum_offset 128
		.amdhsa_reserve_vcc 1
		.amdhsa_reserve_flat_scratch 0
		.amdhsa_float_round_mode_32 0
		.amdhsa_float_round_mode_16_64 0
		.amdhsa_float_denorm_mode_32 3
		.amdhsa_float_denorm_mode_16_64 3
		.amdhsa_dx10_clamp 1
		.amdhsa_ieee_mode 1
		.amdhsa_fp16_overflow 0
		.amdhsa_tg_split 0
		.amdhsa_exception_fp_ieee_invalid_op 0
		.amdhsa_exception_fp_denorm_src 0
		.amdhsa_exception_fp_ieee_div_zero 0
		.amdhsa_exception_fp_ieee_overflow 0
		.amdhsa_exception_fp_ieee_underflow 0
		.amdhsa_exception_fp_ieee_inexact 0
		.amdhsa_exception_int_div_zero 0
	.end_amdhsa_kernel
	.section	.text._ZL12rwkv_wkv_f32ILi128EEviiiiPKfS1_S1_S1_S1_S1_Pf,"axG",@progbits,_ZL12rwkv_wkv_f32ILi128EEviiiiPKfS1_S1_S1_S1_S1_Pf,comdat
.Lfunc_end1:
	.size	_ZL12rwkv_wkv_f32ILi128EEviiiiPKfS1_S1_S1_S1_S1_Pf, .Lfunc_end1-_ZL12rwkv_wkv_f32ILi128EEviiiiPKfS1_S1_S1_S1_S1_Pf
                                        ; -- End function
	.section	.AMDGPU.csdata,"",@progbits
; Kernel info:
; codeLenInByte = 14920
; NumSgprs: 36
; NumVgprs: 128
; NumAgprs: 0
; TotalNumVgprs: 128
; ScratchSize: 172
; MemoryBound: 0
; FloatMode: 240
; IeeeMode: 1
; LDSByteSize: 2048 bytes/workgroup (compile time only)
; SGPRBlocks: 4
; VGPRBlocks: 15
; NumSGPRsForWavesPerEU: 36
; NumVGPRsForWavesPerEU: 128
; AccumOffset: 128
; Occupancy: 4
; WaveLimiterHint : 1
; COMPUTE_PGM_RSRC2:SCRATCH_EN: 1
; COMPUTE_PGM_RSRC2:USER_SGPR: 6
; COMPUTE_PGM_RSRC2:TRAP_HANDLER: 0
; COMPUTE_PGM_RSRC2:TGID_X_EN: 1
; COMPUTE_PGM_RSRC2:TGID_Y_EN: 0
; COMPUTE_PGM_RSRC2:TGID_Z_EN: 0
; COMPUTE_PGM_RSRC2:TIDIG_COMP_CNT: 0
; COMPUTE_PGM_RSRC3_GFX90A:ACCUM_OFFSET: 31
; COMPUTE_PGM_RSRC3_GFX90A:TG_SPLIT: 0
	.section	.text._ZL13rwkv_wkv7_f32ILi64EEviiiiPKfS1_S1_S1_S1_S1_S1_Pf,"axG",@progbits,_ZL13rwkv_wkv7_f32ILi64EEviiiiPKfS1_S1_S1_S1_S1_S1_Pf,comdat
	.globl	_ZL13rwkv_wkv7_f32ILi64EEviiiiPKfS1_S1_S1_S1_S1_S1_Pf ; -- Begin function _ZL13rwkv_wkv7_f32ILi64EEviiiiPKfS1_S1_S1_S1_S1_S1_Pf
	.p2align	8
	.type	_ZL13rwkv_wkv7_f32ILi64EEviiiiPKfS1_S1_S1_S1_S1_S1_Pf,@function
_ZL13rwkv_wkv7_f32ILi64EEviiiiPKfS1_S1_S1_S1_S1_S1_Pf: ; @_ZL13rwkv_wkv7_f32ILi64EEviiiiPKfS1_S1_S1_S1_S1_S1_Pf
; %bb.0:
	s_load_dwordx4 s[24:27], s[4:5], 0x0
	s_load_dwordx16 s[8:23], s[4:5], 0x10
	s_abs_i32 s1, s6
	s_waitcnt lgkmcnt(0)
	s_abs_i32 s0, s27
	v_cvt_f32_u32_e32 v1, s0
	s_sub_i32 s3, 0, s0
	s_xor_b32 s2, s6, s27
	s_ashr_i32 s2, s2, 31
	v_rcp_iflag_f32_e32 v1, v1
	v_mov_b32_e32 v4, s21
	v_mul_f32_e32 v1, 0x4f7ffffe, v1
	v_cvt_u32_f32_e32 v1, v1
	v_readfirstlane_b32 s4, v1
	s_mul_i32 s3, s3, s4
	s_mul_hi_u32 s3, s4, s3
	s_add_i32 s4, s4, s3
	s_mul_hi_u32 s3, s1, s4
	s_mul_i32 s4, s3, s0
	s_sub_i32 s1, s1, s4
	s_add_i32 s5, s3, 1
	s_sub_i32 s4, s1, s0
	s_cmp_ge_u32 s1, s0
	s_cselect_b32 s3, s5, s3
	s_cselect_b32 s1, s4, s1
	s_add_i32 s4, s3, 1
	s_cmp_ge_u32 s1, s0
	s_cselect_b32 s0, s4, s3
	s_xor_b32 s0, s0, s2
	s_sub_i32 s0, s0, s2
	s_mul_i32 s1, s0, s27
	s_mul_i32 s2, s26, s0
	s_sub_i32 s1, s6, s1
	s_lshl_b32 s2, s2, 6
	s_lshl_b32 s3, s1, 12
	s_add_i32 s3, s3, s2
	v_lshl_add_u32 v66, v0, 6, s3
	v_ashrrev_i32_e32 v67, 31, v66
	v_lshlrev_b64 v[2:3], 2, v[66:67]
	v_add_co_u32_e32 v50, vcc, s20, v2
	v_addc_co_u32_e32 v51, vcc, v4, v3, vcc
	global_load_dwordx4 v[6:9], v[50:51], off offset:48
	global_load_dwordx4 v[14:17], v[50:51], off offset:32
	;; [unrolled: 1-line block ×3, first 2 shown]
	global_load_dwordx4 v[22:25], v[50:51], off
	global_load_dwordx4 v[2:5], v[50:51], off offset:112
	global_load_dwordx4 v[10:13], v[50:51], off offset:96
	;; [unrolled: 1-line block ×11, first 2 shown]
	s_nop 0
	global_load_dwordx4 v[50:53], v[50:51], off offset:192
	s_abs_i32 s2, s24
	v_cvt_f32_u32_e32 v1, s2
	s_sub_i32 s5, 0, s2
	s_abs_i32 s4, s25
	s_xor_b32 s3, s25, s24
	v_rcp_iflag_f32_e32 v1, v1
	s_ashr_i32 s3, s3, 31
	v_mul_f32_e32 v1, 0x4f7ffffe, v1
	v_cvt_u32_f32_e32 v1, v1
	v_readfirstlane_b32 s6, v1
	s_mul_i32 s5, s5, s6
	s_mul_hi_u32 s5, s6, s5
	s_add_i32 s6, s6, s5
	s_mul_hi_u32 s5, s4, s6
	s_mul_i32 s6, s5, s2
	s_sub_i32 s4, s4, s6
	s_add_i32 s6, s5, 1
	s_sub_i32 s7, s4, s2
	s_cmp_ge_u32 s4, s2
	s_cselect_b32 s5, s6, s5
	s_cselect_b32 s4, s7, s4
	s_add_i32 s6, s5, 1
	s_cmp_ge_u32 s4, s2
	s_cselect_b32 s2, s6, s5
	s_xor_b32 s2, s2, s3
	s_sub_i32 s2, s2, s3
	s_mul_i32 s2, s2, s26
	s_mul_i32 s3, s2, s0
	s_add_i32 s0, s0, 1
	v_lshl_add_u32 v1, s1, 6, v0
	s_mul_i32 s2, s2, s0
	v_add_u32_e32 v68, s3, v1
	v_add_u32_e32 v67, s2, v1
	v_cmp_lt_i32_e32 vcc, v68, v67
	s_and_saveexec_b64 s[20:21], vcc
	s_cbranch_execz .LBB2_4
; %bb.1:
	v_lshlrev_b32_e32 v82, 2, v0
	v_ashrrev_i32_e32 v69, 31, v68
	s_ashr_i32 s27, s26, 31
	v_add_u32_e32 v83, 0x300, v82
	v_add_u32_e32 v84, 0x400, v82
	;; [unrolled: 1-line block ×4, first 2 shown]
	v_lshlrev_b64 v[70:71], 2, v[68:69]
	s_lshl_b64 s[30:31], s[26:27], 2
	s_mov_b64 s[28:29], 0
	v_mov_b32_e32 v69, 0
.LBB2_2:                                ; =>This Inner Loop Header: Depth=1
	v_mov_b32_e32 v1, s9
	v_mov_b32_e32 v73, s11
	v_add_co_u32_e32 v0, vcc, s10, v70
	v_mov_b32_e32 v75, s13
	v_add_co_u32_e64 v72, s[0:1], s12, v70
	v_add_co_u32_e64 v88, s[6:7], s8, v70
	v_mov_b32_e32 v77, s17
	v_add_co_u32_e64 v74, s[2:3], s16, v70
	v_mov_b32_e32 v78, s19
	v_add_co_u32_e64 v76, s[4:5], s18, v70
	v_addc_co_u32_e64 v89, s[6:7], v1, v71, s[6:7]
	v_addc_co_u32_e32 v1, vcc, v73, v71, vcc
	v_addc_co_u32_e64 v73, vcc, v75, v71, s[0:1]
	s_barrier
	v_addc_co_u32_e64 v75, vcc, v77, v71, s[2:3]
	v_addc_co_u32_e64 v77, vcc, v78, v71, s[4:5]
	global_load_dword v78, v[88:89], off
	s_nop 0
	global_load_dword v0, v[0:1], off
	s_nop 0
	;; [unrolled: 2-line block ×3, first 2 shown]
	global_load_dword v72, v[74:75], off
	global_load_dword v73, v[76:77], off
	v_mov_b32_e32 v81, s15
	v_add_co_u32_e32 v80, vcc, s22, v70
	v_add_u32_e32 v68, s26, v68
	v_mov_b32_e32 v87, s31
	s_waitcnt vmcnt(4)
	ds_write_b32 v83, v78
	s_waitcnt vmcnt(3)
	ds_write_b32 v84, v0
	;; [unrolled: 2-line block ×5, first 2 shown]
	s_waitcnt lgkmcnt(0)
	s_barrier
	ds_read_b128 v[72:75], v69
	ds_read_b128 v[76:79], v69 offset:16
	ds_read_b128 v[88:91], v69 offset:1024
	;; [unrolled: 1-line block ×4, first 2 shown]
	s_waitcnt lgkmcnt(4)
	v_fma_f32 v72, v72, v22, 0
	v_fmac_f32_e32 v72, v73, v23
	v_fmac_f32_e32 v72, v74, v24
	;; [unrolled: 1-line block ×3, first 2 shown]
	s_waitcnt lgkmcnt(2)
	v_pk_mul_f32 v[22:23], v[22:23], v[88:89]
	v_pk_mul_f32 v[24:25], v[24:25], v[90:91]
	ds_read_b128 v[88:91], v69 offset:32
	v_fmac_f32_e32 v72, v76, v18
	v_fmac_f32_e32 v72, v77, v19
	ds_read_b128 v[74:77], v69 offset:48
	v_fmac_f32_e32 v72, v78, v20
	v_fmac_f32_e32 v72, v79, v21
	s_waitcnt lgkmcnt(1)
	v_fmac_f32_e32 v72, v88, v14
	v_fmac_f32_e32 v72, v89, v15
	;; [unrolled: 1-line block ×4, first 2 shown]
	ds_read_b128 v[88:91], v69 offset:1072
	v_pk_mul_f32 v[18:19], v[18:19], v[92:93]
	v_pk_mul_f32 v[20:21], v[20:21], v[94:95]
	ds_read_b128 v[92:95], v69 offset:1056
	s_waitcnt lgkmcnt(2)
	v_fmac_f32_e32 v72, v74, v6
	v_fmac_f32_e32 v72, v75, v7
	v_fmac_f32_e32 v72, v76, v8
	v_fmac_f32_e32 v72, v77, v9
	s_waitcnt lgkmcnt(1)
	v_pk_mul_f32 v[74:75], v[6:7], v[88:89]
	v_pk_mul_f32 v[8:9], v[8:9], v[90:91]
	ds_read_b128 v[88:91], v69 offset:1088
	s_waitcnt lgkmcnt(1)
	v_pk_mul_f32 v[14:15], v[14:15], v[92:93]
	v_pk_mul_f32 v[16:17], v[16:17], v[94:95]
	ds_read_b128 v[92:95], v69 offset:64
	ds_read_b128 v[76:79], v69 offset:80
	v_mov_b32_e32 v73, s23
	s_waitcnt lgkmcnt(1)
	v_fmac_f32_e32 v72, v92, v62
	v_fmac_f32_e32 v72, v93, v63
	;; [unrolled: 1-line block ×4, first 2 shown]
	v_pk_mul_f32 v[62:63], v[62:63], v[88:89]
	v_pk_mul_f32 v[64:65], v[64:65], v[90:91]
	ds_read_b128 v[88:91], v69 offset:96
	s_waitcnt lgkmcnt(1)
	v_fmac_f32_e32 v72, v76, v58
	v_fmac_f32_e32 v72, v77, v59
	ds_read_b128 v[92:95], v69 offset:1104
	v_fmac_f32_e32 v72, v78, v60
	v_fmac_f32_e32 v72, v79, v61
	ds_read_b128 v[76:79], v69 offset:112
	s_waitcnt lgkmcnt(2)
	v_fmac_f32_e32 v72, v88, v10
	v_fmac_f32_e32 v72, v89, v11
	;; [unrolled: 1-line block ×4, first 2 shown]
	ds_read_b128 v[88:91], v69 offset:1136
	s_waitcnt lgkmcnt(2)
	v_pk_mul_f32 v[58:59], v[58:59], v[92:93]
	v_pk_mul_f32 v[60:61], v[60:61], v[94:95]
	ds_read_b128 v[92:95], v69 offset:1120
	s_waitcnt lgkmcnt(2)
	v_fmac_f32_e32 v72, v76, v2
	v_fmac_f32_e32 v72, v77, v3
	s_waitcnt lgkmcnt(1)
	v_pk_mul_f32 v[76:77], v[2:3], v[88:89]
	ds_read_b128 v[0:3], v69 offset:1152
	s_waitcnt lgkmcnt(1)
	v_pk_mul_f32 v[10:11], v[10:11], v[92:93]
	v_pk_mul_f32 v[12:13], v[12:13], v[94:95]
	ds_read_b128 v[92:95], v69 offset:128
	v_fmac_f32_e32 v72, v78, v4
	v_fmac_f32_e32 v72, v79, v5
	v_pk_mul_f32 v[78:79], v[4:5], v[90:91]
	ds_read_b128 v[4:7], v69 offset:1168
	s_waitcnt lgkmcnt(1)
	v_fmac_f32_e32 v72, v92, v54
	v_fmac_f32_e32 v72, v93, v55
	;; [unrolled: 1-line block ×4, first 2 shown]
	v_pk_mul_f32 v[54:55], v[54:55], v[0:1]
	v_pk_mul_f32 v[56:57], v[56:57], v[2:3]
	ds_read_b128 v[0:3], v69 offset:160
	ds_read_b128 v[88:91], v69 offset:176
	v_fmac_f32_e32 v72, v96, v46
	v_fmac_f32_e32 v72, v97, v47
	;; [unrolled: 1-line block ×4, first 2 shown]
	s_waitcnt lgkmcnt(1)
	v_fmac_f32_e32 v72, v0, v38
	v_fmac_f32_e32 v72, v1, v39
	;; [unrolled: 1-line block ×4, first 2 shown]
	ds_read_b128 v[0:3], v69 offset:1200
	v_pk_mul_f32 v[46:47], v[46:47], v[4:5]
	v_pk_mul_f32 v[48:49], v[48:49], v[6:7]
	ds_read_b128 v[4:7], v69 offset:1184
	s_waitcnt lgkmcnt(2)
	v_fmac_f32_e32 v72, v88, v30
	v_fmac_f32_e32 v72, v89, v31
	;; [unrolled: 1-line block ×4, first 2 shown]
	s_waitcnt lgkmcnt(1)
	v_pk_mul_f32 v[30:31], v[30:31], v[0:1]
	v_pk_mul_f32 v[32:33], v[32:33], v[2:3]
	ds_read_b128 v[0:3], v69 offset:1216
	s_waitcnt lgkmcnt(1)
	v_pk_mul_f32 v[38:39], v[38:39], v[4:5]
	v_pk_mul_f32 v[40:41], v[40:41], v[6:7]
	ds_read_b128 v[4:7], v69 offset:192
	ds_read_b128 v[88:91], v69 offset:208
	;; [unrolled: 1-line block ×3, first 2 shown]
	s_waitcnt lgkmcnt(2)
	v_fmac_f32_e32 v72, v4, v50
	v_fmac_f32_e32 v72, v5, v51
	;; [unrolled: 1-line block ×4, first 2 shown]
	s_waitcnt lgkmcnt(1)
	v_fmac_f32_e32 v72, v88, v42
	v_fmac_f32_e32 v72, v89, v43
	;; [unrolled: 1-line block ×3, first 2 shown]
	ds_read_b128 v[4:7], v69 offset:1232
	v_fmac_f32_e32 v72, v91, v45
	ds_read_b128 v[88:91], v69 offset:1248
	v_pk_mul_f32 v[50:51], v[50:51], v[0:1]
	v_pk_mul_f32 v[52:53], v[52:53], v[2:3]
	ds_read_b128 v[0:3], v69 offset:240
	s_waitcnt lgkmcnt(3)
	v_fmac_f32_e32 v72, v92, v34
	v_fmac_f32_e32 v72, v93, v35
	s_waitcnt lgkmcnt(1)
	v_pk_mul_f32 v[34:35], v[34:35], v[88:89]
	v_add_co_u32_e64 v88, s[0:1], s14, v70
	v_addc_co_u32_e64 v89, s[0:1], v81, v71, s[0:1]
	global_load_dword v88, v[88:89], off
	v_fmac_f32_e32 v72, v94, v36
	v_fmac_f32_e32 v72, v95, v37
	s_waitcnt lgkmcnt(0)
	v_fmac_f32_e32 v72, v0, v26
	v_fmac_f32_e32 v72, v1, v27
	;; [unrolled: 1-line block ×3, first 2 shown]
	v_pk_mul_f32 v[42:43], v[42:43], v[4:5]
	v_pk_mul_f32 v[44:45], v[44:45], v[6:7]
	ds_read_b128 v[4:7], v69 offset:1264
	v_fmac_f32_e32 v72, v3, v29
	ds_read_b128 v[0:3], v69 offset:512
	v_pk_mul_f32 v[36:37], v[36:37], v[90:91]
	v_addc_co_u32_e32 v81, vcc, v73, v71, vcc
	s_waitcnt lgkmcnt(1)
	v_pk_mul_f32 v[26:27], v[26:27], v[4:5]
	v_pk_mul_f32 v[28:29], v[28:29], v[6:7]
	ds_read_b128 v[4:7], v69 offset:528
	v_add_co_u32_e64 v70, s[2:3], s30, v70
	v_cmp_ge_i32_e32 vcc, v68, v67
	v_addc_co_u32_e64 v71, s[0:1], v71, v87, s[2:3]
	s_or_b64 s[28:29], vcc, s[28:29]
	s_waitcnt vmcnt(0) lgkmcnt(1)
	v_pk_fma_f32 v[22:23], v[88:89], v[0:1], v[22:23] op_sel_hi:[0,1,1]
	v_pk_fma_f32 v[24:25], v[88:89], v[2:3], v[24:25] op_sel_hi:[0,1,1]
	ds_read_b128 v[0:3], v69 offset:544
	s_waitcnt lgkmcnt(1)
	v_pk_fma_f32 v[18:19], v[88:89], v[4:5], v[18:19] op_sel_hi:[0,1,1]
	v_pk_fma_f32 v[20:21], v[88:89], v[6:7], v[20:21] op_sel_hi:[0,1,1]
	ds_read_b128 v[4:7], v69 offset:560
	s_waitcnt lgkmcnt(1)
	;; [unrolled: 4-line block ×7, first 2 shown]
	v_pk_fma_f32 v[76:77], v[88:89], v[4:5], v[76:77] op_sel_hi:[0,1,1]
	v_pk_fma_f32 v[78:79], v[88:89], v[6:7], v[78:79] op_sel_hi:[0,1,1]
	ds_read_b128 v[4:7], v69 offset:656
	ds_read_b128 v[10:13], v69 offset:336
	s_waitcnt lgkmcnt(2)
	v_pk_fma_f32 v[54:55], v[88:89], v[0:1], v[54:55] op_sel_hi:[0,1,1]
	v_pk_fma_f32 v[56:57], v[88:89], v[2:3], v[56:57] op_sel_hi:[0,1,1]
	ds_read_b128 v[0:3], v69 offset:672
	s_waitcnt lgkmcnt(2)
	v_pk_fma_f32 v[46:47], v[88:89], v[4:5], v[46:47] op_sel_hi:[0,1,1]
	v_pk_fma_f32 v[48:49], v[88:89], v[6:7], v[48:49] op_sel_hi:[0,1,1]
	ds_read_b128 v[4:7], v69 offset:688
	s_waitcnt lgkmcnt(2)
	v_pk_fma_f32 v[60:61], v[72:73], v[12:13], v[60:61] op_sel_hi:[0,1,1]
	s_waitcnt lgkmcnt(1)
	v_pk_fma_f32 v[38:39], v[88:89], v[0:1], v[38:39] op_sel_hi:[0,1,1]
	v_pk_fma_f32 v[40:41], v[88:89], v[2:3], v[40:41] op_sel_hi:[0,1,1]
	ds_read_b128 v[0:3], v69 offset:704
	s_waitcnt lgkmcnt(1)
	v_pk_fma_f32 v[96:97], v[88:89], v[4:5], v[30:31] op_sel_hi:[0,1,1]
	v_pk_fma_f32 v[98:99], v[88:89], v[6:7], v[32:33] op_sel_hi:[0,1,1]
	ds_read_b128 v[4:7], v69 offset:720
	ds_read_b128 v[30:33], v69 offset:384
	s_waitcnt lgkmcnt(2)
	v_pk_fma_f32 v[50:51], v[88:89], v[0:1], v[50:51] op_sel_hi:[0,1,1]
	v_pk_fma_f32 v[52:53], v[88:89], v[2:3], v[52:53] op_sel_hi:[0,1,1]
	ds_read_b128 v[0:3], v69 offset:736
	s_waitcnt lgkmcnt(2)
	v_pk_fma_f32 v[42:43], v[88:89], v[4:5], v[42:43] op_sel_hi:[0,1,1]
	v_pk_fma_f32 v[44:45], v[88:89], v[6:7], v[44:45] op_sel_hi:[0,1,1]
	ds_read_b128 v[4:7], v69 offset:752
	v_pk_fma_f32 v[58:59], v[72:73], v[10:11], v[58:59] op_sel_hi:[0,1,1]
	s_waitcnt lgkmcnt(1)
	v_pk_fma_f32 v[100:101], v[88:89], v[0:1], v[34:35] op_sel_hi:[0,1,1]
	v_pk_fma_f32 v[102:103], v[88:89], v[2:3], v[36:37] op_sel_hi:[0,1,1]
	ds_read_b128 v[0:3], v69 offset:256
	s_waitcnt lgkmcnt(1)
	v_pk_fma_f32 v[104:105], v[88:89], v[4:5], v[26:27] op_sel_hi:[0,1,1]
	v_pk_fma_f32 v[88:89], v[88:89], v[6:7], v[28:29] op_sel_hi:[0,1,1]
	ds_read_b128 v[4:7], v69 offset:272
	ds_read_b128 v[26:29], v69 offset:368
	s_waitcnt lgkmcnt(2)
	v_pk_fma_f32 v[22:23], v[72:73], v[0:1], v[22:23] op_sel_hi:[0,1,1]
	v_pk_fma_f32 v[24:25], v[72:73], v[2:3], v[24:25] op_sel_hi:[0,1,1]
	ds_read_b128 v[0:3], v69 offset:288
	s_waitcnt lgkmcnt(2)
	v_pk_fma_f32 v[20:21], v[72:73], v[6:7], v[20:21] op_sel_hi:[0,1,1]
	ds_read_b128 v[6:9], v69 offset:304
	v_pk_fma_f32 v[18:19], v[72:73], v[4:5], v[18:19] op_sel_hi:[0,1,1]
	s_waitcnt lgkmcnt(2)
	v_pk_fma_f32 v[4:5], v[72:73], v[28:29], v[78:79] op_sel_hi:[0,1,1]
	s_waitcnt lgkmcnt(1)
	v_pk_fma_f32 v[14:15], v[72:73], v[0:1], v[14:15] op_sel_hi:[0,1,1]
	v_pk_fma_f32 v[16:17], v[72:73], v[2:3], v[16:17] op_sel_hi:[0,1,1]
	ds_read_b128 v[0:3], v69 offset:320
	ds_read_b128 v[34:37], v69 offset:448
	s_waitcnt lgkmcnt(2)
	v_pk_fma_f32 v[6:7], v[72:73], v[6:7], v[74:75] op_sel_hi:[0,1,1]
	v_pk_fma_f32 v[8:9], v[72:73], v[8:9], v[90:91] op_sel_hi:[0,1,1]
	s_waitcnt lgkmcnt(1)
	v_pk_fma_f32 v[62:63], v[72:73], v[0:1], v[62:63] op_sel_hi:[0,1,1]
	v_pk_fma_f32 v[64:65], v[72:73], v[2:3], v[64:65] op_sel_hi:[0,1,1]
	ds_read_b128 v[0:3], v69 offset:352
	s_waitcnt lgkmcnt(0)
	v_pk_fma_f32 v[12:13], v[72:73], v[2:3], v[94:95] op_sel_hi:[0,1,1]
	v_pk_fma_f32 v[2:3], v[72:73], v[26:27], v[76:77] op_sel_hi:[0,1,1]
	ds_read_b128 v[26:29], v69 offset:400
	v_pk_fma_f32 v[54:55], v[72:73], v[30:31], v[54:55] op_sel_hi:[0,1,1]
	v_pk_fma_f32 v[56:57], v[72:73], v[32:33], v[56:57] op_sel_hi:[0,1,1]
	ds_read_b128 v[30:33], v69 offset:416
	ds_read_b128 v[74:77], v69 offset:768
	s_waitcnt lgkmcnt(2)
	v_pk_fma_f32 v[46:47], v[72:73], v[26:27], v[46:47] op_sel_hi:[0,1,1]
	v_pk_fma_f32 v[48:49], v[72:73], v[28:29], v[48:49] op_sel_hi:[0,1,1]
	ds_read_b128 v[26:29], v69 offset:432
	s_waitcnt lgkmcnt(2)
	v_pk_fma_f32 v[38:39], v[72:73], v[30:31], v[38:39] op_sel_hi:[0,1,1]
	v_pk_fma_f32 v[40:41], v[72:73], v[32:33], v[40:41] op_sel_hi:[0,1,1]
	;; [unrolled: 1-line block ×3, first 2 shown]
	s_waitcnt lgkmcnt(1)
	v_fma_f32 v0, v22, v74, 0
	s_waitcnt lgkmcnt(0)
	v_pk_fma_f32 v[30:31], v[72:73], v[26:27], v[96:97] op_sel_hi:[0,1,1]
	v_pk_fma_f32 v[32:33], v[72:73], v[28:29], v[98:99] op_sel_hi:[0,1,1]
	ds_read_b128 v[26:29], v69 offset:464
	v_pk_fma_f32 v[50:51], v[72:73], v[34:35], v[50:51] op_sel_hi:[0,1,1]
	v_pk_fma_f32 v[52:53], v[72:73], v[36:37], v[52:53] op_sel_hi:[0,1,1]
	ds_read_b128 v[34:37], v69 offset:480
	v_fmac_f32_e32 v0, v23, v75
	s_waitcnt lgkmcnt(1)
	v_pk_fma_f32 v[42:43], v[72:73], v[26:27], v[42:43] op_sel_hi:[0,1,1]
	v_pk_fma_f32 v[44:45], v[72:73], v[28:29], v[44:45] op_sel_hi:[0,1,1]
	ds_read_b128 v[26:29], v69 offset:496
	v_fmac_f32_e32 v0, v24, v76
	v_fmac_f32_e32 v0, v25, v77
	s_waitcnt lgkmcnt(1)
	v_pk_fma_f32 v[34:35], v[72:73], v[34:35], v[100:101] op_sel_hi:[0,1,1]
	v_pk_fma_f32 v[36:37], v[72:73], v[36:37], v[102:103] op_sel_hi:[0,1,1]
	s_waitcnt lgkmcnt(0)
	v_pk_fma_f32 v[28:29], v[72:73], v[28:29], v[88:89] op_sel_hi:[0,1,1]
	ds_read_b128 v[88:91], v69 offset:784
	ds_read_b128 v[92:95], v69 offset:800
	v_pk_fma_f32 v[26:27], v[72:73], v[26:27], v[104:105] op_sel_hi:[0,1,1]
	ds_read_b128 v[72:75], v69 offset:816
	ds_read_b128 v[76:79], v69 offset:832
	s_waitcnt lgkmcnt(3)
	v_fmac_f32_e32 v0, v18, v88
	v_fmac_f32_e32 v0, v19, v89
	;; [unrolled: 1-line block ×4, first 2 shown]
	s_waitcnt lgkmcnt(2)
	v_fmac_f32_e32 v0, v14, v92
	v_fmac_f32_e32 v0, v15, v93
	v_fmac_f32_e32 v0, v16, v94
	v_fmac_f32_e32 v0, v17, v95
	s_waitcnt lgkmcnt(1)
	v_fmac_f32_e32 v0, v6, v72
	v_fmac_f32_e32 v0, v7, v73
	v_fmac_f32_e32 v0, v8, v74
	ds_read_b128 v[88:91], v69 offset:848
	v_fmac_f32_e32 v0, v9, v75
	ds_read_b128 v[72:75], v69 offset:864
	s_waitcnt lgkmcnt(2)
	v_fmac_f32_e32 v0, v62, v76
	v_fmac_f32_e32 v0, v63, v77
	v_fmac_f32_e32 v0, v64, v78
	v_fmac_f32_e32 v0, v65, v79
	s_waitcnt lgkmcnt(1)
	v_fmac_f32_e32 v0, v58, v88
	v_fmac_f32_e32 v0, v59, v89
	v_fmac_f32_e32 v0, v60, v90
	ds_read_b128 v[76:79], v69 offset:880
	v_fmac_f32_e32 v0, v61, v91
	ds_read_b128 v[88:91], v69 offset:896
	;; [unrolled: 12-line block ×5, first 2 shown]
	s_waitcnt lgkmcnt(2)
	v_fmac_f32_e32 v0, v50, v72
	v_fmac_f32_e32 v0, v51, v73
	;; [unrolled: 1-line block ×4, first 2 shown]
	s_waitcnt lgkmcnt(1)
	v_fmac_f32_e32 v0, v42, v76
	v_fmac_f32_e32 v0, v43, v77
	;; [unrolled: 1-line block ×3, first 2 shown]
	ds_read_b128 v[72:75], v69 offset:1008
	v_fmac_f32_e32 v0, v45, v79
	s_waitcnt lgkmcnt(1)
	v_fmac_f32_e32 v0, v34, v88
	v_fmac_f32_e32 v0, v35, v89
	;; [unrolled: 1-line block ×4, first 2 shown]
	s_waitcnt lgkmcnt(0)
	v_fmac_f32_e32 v0, v26, v72
	v_fmac_f32_e32 v0, v27, v73
	;; [unrolled: 1-line block ×4, first 2 shown]
	global_store_dword v[80:81], v0, off
	s_andn2_b64 exec, exec, s[28:29]
	s_cbranch_execnz .LBB2_2
; %bb.3:
	s_or_b64 exec, exec, s[28:29]
.LBB2_4:
	s_or_b64 exec, exec, s[20:21]
	s_mul_i32 s0, s26, s25
	v_add_u32_e32 v0, s0, v66
	v_ashrrev_i32_e32 v1, 31, v0
	v_lshlrev_b64 v[0:1], 2, v[0:1]
	v_mov_b32_e32 v66, s23
	v_add_co_u32_e32 v0, vcc, s22, v0
	v_addc_co_u32_e32 v1, vcc, v66, v1, vcc
	s_waitcnt vmcnt(12)
	global_store_dwordx4 v[0:1], v[22:25], off
	global_store_dwordx4 v[0:1], v[18:21], off offset:16
	global_store_dwordx4 v[0:1], v[14:17], off offset:32
	global_store_dwordx4 v[0:1], v[6:9], off offset:48
	s_waitcnt vmcnt(12)
	global_store_dwordx4 v[0:1], v[62:65], off offset:64
	global_store_dwordx4 v[0:1], v[58:61], off offset:80
	global_store_dwordx4 v[0:1], v[10:13], off offset:96
	global_store_dwordx4 v[0:1], v[2:5], off offset:112
	s_waitcnt vmcnt(12)
	global_store_dwordx4 v[0:1], v[54:57], off offset:128
	;; [unrolled: 5-line block ×3, first 2 shown]
	global_store_dwordx4 v[0:1], v[42:45], off offset:208
	global_store_dwordx4 v[0:1], v[34:37], off offset:224
	;; [unrolled: 1-line block ×3, first 2 shown]
	s_endpgm
	.section	.rodata,"a",@progbits
	.p2align	6, 0x0
	.amdhsa_kernel _ZL13rwkv_wkv7_f32ILi64EEviiiiPKfS1_S1_S1_S1_S1_S1_Pf
		.amdhsa_group_segment_fixed_size 1280
		.amdhsa_private_segment_fixed_size 0
		.amdhsa_kernarg_size 80
		.amdhsa_user_sgpr_count 6
		.amdhsa_user_sgpr_private_segment_buffer 1
		.amdhsa_user_sgpr_dispatch_ptr 0
		.amdhsa_user_sgpr_queue_ptr 0
		.amdhsa_user_sgpr_kernarg_segment_ptr 1
		.amdhsa_user_sgpr_dispatch_id 0
		.amdhsa_user_sgpr_flat_scratch_init 0
		.amdhsa_user_sgpr_kernarg_preload_length 0
		.amdhsa_user_sgpr_kernarg_preload_offset 0
		.amdhsa_user_sgpr_private_segment_size 0
		.amdhsa_uses_dynamic_stack 0
		.amdhsa_system_sgpr_private_segment_wavefront_offset 0
		.amdhsa_system_sgpr_workgroup_id_x 1
		.amdhsa_system_sgpr_workgroup_id_y 0
		.amdhsa_system_sgpr_workgroup_id_z 0
		.amdhsa_system_sgpr_workgroup_info 0
		.amdhsa_system_vgpr_workitem_id 0
		.amdhsa_next_free_vgpr 106
		.amdhsa_next_free_sgpr 32
		.amdhsa_accum_offset 108
		.amdhsa_reserve_vcc 1
		.amdhsa_reserve_flat_scratch 0
		.amdhsa_float_round_mode_32 0
		.amdhsa_float_round_mode_16_64 0
		.amdhsa_float_denorm_mode_32 3
		.amdhsa_float_denorm_mode_16_64 3
		.amdhsa_dx10_clamp 1
		.amdhsa_ieee_mode 1
		.amdhsa_fp16_overflow 0
		.amdhsa_tg_split 0
		.amdhsa_exception_fp_ieee_invalid_op 0
		.amdhsa_exception_fp_denorm_src 0
		.amdhsa_exception_fp_ieee_div_zero 0
		.amdhsa_exception_fp_ieee_overflow 0
		.amdhsa_exception_fp_ieee_underflow 0
		.amdhsa_exception_fp_ieee_inexact 0
		.amdhsa_exception_int_div_zero 0
	.end_amdhsa_kernel
	.section	.text._ZL13rwkv_wkv7_f32ILi64EEviiiiPKfS1_S1_S1_S1_S1_S1_Pf,"axG",@progbits,_ZL13rwkv_wkv7_f32ILi64EEviiiiPKfS1_S1_S1_S1_S1_S1_Pf,comdat
.Lfunc_end2:
	.size	_ZL13rwkv_wkv7_f32ILi64EEviiiiPKfS1_S1_S1_S1_S1_S1_Pf, .Lfunc_end2-_ZL13rwkv_wkv7_f32ILi64EEviiiiPKfS1_S1_S1_S1_S1_S1_Pf
                                        ; -- End function
	.section	.AMDGPU.csdata,"",@progbits
; Kernel info:
; codeLenInByte = 3232
; NumSgprs: 36
; NumVgprs: 106
; NumAgprs: 0
; TotalNumVgprs: 106
; ScratchSize: 0
; MemoryBound: 0
; FloatMode: 240
; IeeeMode: 1
; LDSByteSize: 1280 bytes/workgroup (compile time only)
; SGPRBlocks: 4
; VGPRBlocks: 13
; NumSGPRsForWavesPerEU: 36
; NumVGPRsForWavesPerEU: 106
; AccumOffset: 108
; Occupancy: 4
; WaveLimiterHint : 0
; COMPUTE_PGM_RSRC2:SCRATCH_EN: 0
; COMPUTE_PGM_RSRC2:USER_SGPR: 6
; COMPUTE_PGM_RSRC2:TRAP_HANDLER: 0
; COMPUTE_PGM_RSRC2:TGID_X_EN: 1
; COMPUTE_PGM_RSRC2:TGID_Y_EN: 0
; COMPUTE_PGM_RSRC2:TGID_Z_EN: 0
; COMPUTE_PGM_RSRC2:TIDIG_COMP_CNT: 0
; COMPUTE_PGM_RSRC3_GFX90A:ACCUM_OFFSET: 26
; COMPUTE_PGM_RSRC3_GFX90A:TG_SPLIT: 0
	.section	.text._ZL13rwkv_wkv7_f32ILi128EEviiiiPKfS1_S1_S1_S1_S1_S1_Pf,"axG",@progbits,_ZL13rwkv_wkv7_f32ILi128EEviiiiPKfS1_S1_S1_S1_S1_S1_Pf,comdat
	.globl	_ZL13rwkv_wkv7_f32ILi128EEviiiiPKfS1_S1_S1_S1_S1_S1_Pf ; -- Begin function _ZL13rwkv_wkv7_f32ILi128EEviiiiPKfS1_S1_S1_S1_S1_S1_Pf
	.p2align	8
	.type	_ZL13rwkv_wkv7_f32ILi128EEviiiiPKfS1_S1_S1_S1_S1_S1_Pf,@function
_ZL13rwkv_wkv7_f32ILi128EEviiiiPKfS1_S1_S1_S1_S1_S1_Pf: ; @_ZL13rwkv_wkv7_f32ILi128EEviiiiPKfS1_S1_S1_S1_S1_S1_Pf
; %bb.0:
	s_mov_b64 s[30:31], s[2:3]
	s_mov_b64 s[28:29], s[0:1]
	s_load_dwordx4 s[0:3], s[4:5], 0x0
	s_load_dwordx16 s[8:23], s[4:5], 0x10
	s_add_u32 s28, s28, s7
	s_addc_u32 s29, s29, 0
	s_abs_i32 s5, s6
	s_waitcnt lgkmcnt(0)
	s_abs_i32 s7, s3
	v_cvt_f32_u32_e32 v1, s7
	s_sub_i32 s24, 0, s7
	s_xor_b32 s4, s6, s3
	s_ashr_i32 s4, s4, 31
	v_rcp_iflag_f32_e32 v1, v1
	v_mul_f32_e32 v1, 0x4f7ffffe, v1
	v_cvt_u32_f32_e32 v1, v1
	v_readfirstlane_b32 s25, v1
	s_mul_i32 s24, s24, s25
	s_mul_hi_u32 s24, s25, s24
	s_add_i32 s25, s25, s24
	s_mul_hi_u32 s24, s5, s25
	s_mul_i32 s25, s24, s7
	s_sub_i32 s5, s5, s25
	s_add_i32 s25, s24, 1
	s_sub_i32 s26, s5, s7
	s_cmp_ge_u32 s5, s7
	s_cselect_b32 s24, s25, s24
	s_cselect_b32 s5, s26, s5
	s_add_i32 s25, s24, 1
	s_cmp_ge_u32 s5, s7
	s_cselect_b32 s5, s25, s24
	s_xor_b32 s5, s5, s4
	s_sub_i32 s4, s5, s4
	s_mul_i32 s3, s4, s3
	s_sub_i32 s3, s6, s3
	s_mul_i32 s5, s2, s4
	s_lshl_b32 s5, s5, 7
	s_lshl_b32 s6, s3, 14
	s_add_i32 s6, s6, s5
	v_lshl_add_u32 v6, v0, 7, s6
	v_ashrrev_i32_e32 v7, 31, v6
	v_lshlrev_b64 v[2:3], 2, v[6:7]
	v_add_co_u32_e32 v14, vcc, s20, v2
	v_mov_b32_e32 v1, s21
	v_addc_co_u32_e32 v15, vcc, v1, v3, vcc
	global_load_dwordx4 v[60:63], v[14:15], off offset:48
	global_load_dwordx4 v[122:125], v[14:15], off offset:32
	;; [unrolled: 1-line block ×3, first 2 shown]
	s_xor_b32 s5, s1, s0
	s_abs_i32 s0, s0
	v_cvt_f32_u32_e32 v1, s0
	s_sub_i32 s7, 0, s0
	s_abs_i32 s6, s1
	s_ashr_i32 s5, s5, 31
	v_rcp_iflag_f32_e32 v1, v1
	s_waitcnt vmcnt(0)
	buffer_store_dword v2, off, s[28:31], 0 ; 4-byte Folded Spill
	s_nop 0
	buffer_store_dword v3, off, s[28:31], 0 offset:4 ; 4-byte Folded Spill
	buffer_store_dword v4, off, s[28:31], 0 offset:8 ; 4-byte Folded Spill
	buffer_store_dword v5, off, s[28:31], 0 offset:12 ; 4-byte Folded Spill
	global_load_dwordx4 v[8:11], v[14:15], off
	global_load_dwordx4 v[106:109], v[14:15], off offset:112
	global_load_dwordx4 v[20:23], v[14:15], off offset:96
	;; [unrolled: 1-line block ×21, first 2 shown]
	v_mul_f32_e32 v1, 0x4f7ffffe, v1
	v_cvt_u32_f32_e32 v1, v1
	s_waitcnt vmcnt(0)
	buffer_store_dword v28, off, s[28:31], 0 offset:112 ; 4-byte Folded Spill
	s_nop 0
	buffer_store_dword v29, off, s[28:31], 0 offset:116 ; 4-byte Folded Spill
	buffer_store_dword v30, off, s[28:31], 0 offset:120 ; 4-byte Folded Spill
	;; [unrolled: 1-line block ×3, first 2 shown]
	global_load_dwordx4 v[28:31], v[14:15], off offset:416
	v_readfirstlane_b32 s20, v1
	s_mul_i32 s7, s7, s20
	s_mul_hi_u32 s7, s20, s7
	s_add_i32 s20, s20, s7
	s_mul_hi_u32 s7, s6, s20
	s_mul_i32 s20, s7, s0
	s_sub_i32 s6, s6, s20
	s_add_i32 s20, s7, 1
	s_sub_i32 s21, s6, s0
	s_cmp_ge_u32 s6, s0
	s_cselect_b32 s7, s20, s7
	s_cselect_b32 s6, s21, s6
	s_add_i32 s20, s7, 1
	s_cmp_ge_u32 s6, s0
	s_cselect_b32 s0, s20, s7
	s_xor_b32 s0, s0, s5
	s_sub_i32 s0, s0, s5
	s_mul_i32 s0, s0, s2
	s_mul_i32 s5, s0, s4
	s_add_i32 s4, s4, 1
	v_lshl_add_u32 v1, s3, 7, v0
	s_mul_i32 s0, s0, s4
	s_waitcnt vmcnt(0)
	buffer_store_dword v28, off, s[28:31], 0 offset:128 ; 4-byte Folded Spill
	s_nop 0
	buffer_store_dword v29, off, s[28:31], 0 offset:132 ; 4-byte Folded Spill
	buffer_store_dword v30, off, s[28:31], 0 offset:136 ; 4-byte Folded Spill
	;; [unrolled: 1-line block ×3, first 2 shown]
	global_load_dwordx4 v[38:41], v[14:15], off offset:400
	global_load_dwordx4 v[42:45], v[14:15], off offset:384
	s_nop 0
	global_load_dwordx4 v[28:31], v[14:15], off offset:496
	s_waitcnt vmcnt(0)
	buffer_store_dword v28, off, s[28:31], 0 offset:48 ; 4-byte Folded Spill
	s_nop 0
	buffer_store_dword v29, off, s[28:31], 0 offset:52 ; 4-byte Folded Spill
	buffer_store_dword v30, off, s[28:31], 0 offset:56 ; 4-byte Folded Spill
	buffer_store_dword v31, off, s[28:31], 0 offset:60 ; 4-byte Folded Spill
	global_load_dwordx4 v[28:31], v[14:15], off offset:480
	s_waitcnt vmcnt(0)
	buffer_store_dword v28, off, s[28:31], 0 offset:64 ; 4-byte Folded Spill
	s_nop 0
	buffer_store_dword v29, off, s[28:31], 0 offset:68 ; 4-byte Folded Spill
	buffer_store_dword v30, off, s[28:31], 0 offset:72 ; 4-byte Folded Spill
	buffer_store_dword v31, off, s[28:31], 0 offset:76 ; 4-byte Folded Spill
	;; [unrolled: 7-line block ×3, first 2 shown]
	global_load_dwordx4 v[12:15], v[14:15], off offset:448
	v_pk_mov_b32 v[30:31], v[4:5], v[4:5] op_sel:[0,1]
	v_pk_mov_b32 v[28:29], v[2:3], v[2:3] op_sel:[0,1]
	s_waitcnt vmcnt(0)
	buffer_store_dword v12, off, s[28:31], 0 offset:96 ; 4-byte Folded Spill
	s_nop 0
	buffer_store_dword v13, off, s[28:31], 0 offset:100 ; 4-byte Folded Spill
	buffer_store_dword v14, off, s[28:31], 0 offset:104 ; 4-byte Folded Spill
	;; [unrolled: 1-line block ×3, first 2 shown]
	v_add_u32_e32 v14, s5, v1
	v_add_u32_e32 v1, s0, v1
	v_mov_b32_e32 v12, v14
	v_cmp_lt_i32_e32 vcc, v14, v1
	s_and_saveexec_b64 s[4:5], vcc
	s_cbranch_execz .LBB3_4
; %bb.1:
	buffer_store_dword v6, off, s[28:31], 0 offset:472 ; 4-byte Folded Spill
	s_nop 0
	buffer_store_dword v7, off, s[28:31], 0 offset:476 ; 4-byte Folded Spill
	v_lshlrev_b32_e32 v0, 2, v0
	v_add_u32_e32 v6, 0x600, v0
	buffer_store_dword v6, off, s[28:31], 0 offset:456 ; 4-byte Folded Spill
	v_add_u32_e32 v6, 0x800, v0
	buffer_store_dword v6, off, s[28:31], 0 offset:460 ; 4-byte Folded Spill
	;; [unrolled: 2-line block ×3, first 2 shown]
	buffer_store_dword v0, off, s[28:31], 0 offset:452 ; 4-byte Folded Spill
	v_add_u32_e32 v0, 0x200, v0
	buffer_store_dword v0, off, s[28:31], 0 offset:468 ; 4-byte Folded Spill
	buffer_load_dword v4, off, s[28:31], 0  ; 4-byte Folded Reload
	buffer_load_dword v5, off, s[28:31], 0 offset:4 ; 4-byte Folded Reload
	buffer_load_dword v6, off, s[28:31], 0 offset:8 ; 4-byte Folded Reload
	;; [unrolled: 1-line block ×3, first 2 shown]
	v_pk_mov_b32 v[114:115], v[116:117], v[116:117] op_sel:[0,1]
	v_ashrrev_i32_e32 v13, 31, v12
	s_ashr_i32 s3, s2, 31
	v_pk_mov_b32 v[116:117], v[118:119], v[118:119] op_sel:[0,1]
	v_pk_mov_b32 v[120:121], v[10:11], v[10:11] op_sel:[0,1]
	v_mov_b32_e32 v36, v12
	v_lshlrev_b64 v[12:13], 2, v[12:13]
	s_lshl_b64 s[20:21], s[2:3], 2
	s_mov_b64 s[6:7], 0
	v_mov_b32_e32 v127, 0
	v_pk_mov_b32 v[118:119], v[8:9], v[8:9] op_sel:[0,1]
	buffer_store_dword v1, off, s[28:31], 0 offset:448 ; 4-byte Folded Spill
.LBB3_2:                                ; =>This Inner Loop Header: Depth=1
	v_pk_mov_b32 v[2:3], v[12:13], v[12:13] op_sel:[0,1]
	buffer_store_dword v2, off, s[28:31], 0 ; 4-byte Folded Spill
	s_nop 0
	buffer_store_dword v3, off, s[28:31], 0 offset:4 ; 4-byte Folded Spill
	v_mov_b32_e32 v1, s9
	v_mov_b32_e32 v9, s11
	;; [unrolled: 1-line block ×5, first 2 shown]
	s_barrier
	v_add_co_u32_e32 v0, vcc, s8, v2
	v_addc_co_u32_e32 v1, vcc, v1, v3, vcc
	v_add_co_u32_e32 v8, vcc, s10, v2
	v_addc_co_u32_e32 v9, vcc, v9, v3, vcc
	;; [unrolled: 2-line block ×5, first 2 shown]
	global_load_dword v0, v[0:1], off
	s_nop 0
	global_load_dword v1, v[8:9], off
	s_nop 0
	global_load_dword v8, v[10:11], off
	global_load_dword v9, v[12:13], off
	s_nop 0
	global_load_dword v10, v[14:15], off
	buffer_load_dword v2, off, s[28:31], 0 offset:456 ; 4-byte Folded Reload
	s_waitcnt vmcnt(0)
	ds_write_b32 v2, v0
	buffer_load_dword v0, off, s[28:31], 0 offset:460 ; 4-byte Folded Reload
	s_waitcnt vmcnt(0)
	ds_write_b32 v0, v1
	;; [unrolled: 3-line block ×5, first 2 shown]
	s_waitcnt lgkmcnt(0)
	s_barrier
	ds_read_b128 v[8:11], v127
	ds_read_b128 v[0:3], v127 offset:16
	s_waitcnt lgkmcnt(1)
	v_fma_f32 v126, v8, v118, 0
	v_fmac_f32_e32 v126, v9, v119
	v_fmac_f32_e32 v126, v10, v120
	;; [unrolled: 1-line block ×3, first 2 shown]
	s_waitcnt lgkmcnt(0)
	v_fmac_f32_e32 v126, v0, v4
	v_fmac_f32_e32 v126, v1, v5
	;; [unrolled: 1-line block ×3, first 2 shown]
	ds_read_b128 v[8:11], v127 offset:2048
	v_fmac_f32_e32 v126, v3, v7
	ds_read_b128 v[0:3], v127 offset:2064
	s_waitcnt lgkmcnt(1)
	v_pk_mul_f32 v[12:13], v[118:119], v[8:9]
	v_pk_mul_f32 v[14:15], v[120:121], v[10:11]
	s_waitcnt lgkmcnt(0)
	v_pk_mul_f32 v[0:1], v[4:5], v[0:1]
	buffer_store_dword v0, off, s[28:31], 0 offset:16 ; 4-byte Folded Spill
	s_nop 0
	buffer_store_dword v1, off, s[28:31], 0 offset:20 ; 4-byte Folded Spill
	v_pk_mul_f32 v[0:1], v[6:7], v[2:3]
	buffer_store_dword v0, off, s[28:31], 0 offset:32 ; 4-byte Folded Spill
	s_nop 0
	buffer_store_dword v1, off, s[28:31], 0 offset:36 ; 4-byte Folded Spill
	ds_read_b128 v[0:3], v127 offset:32
	s_waitcnt lgkmcnt(0)
	v_fmac_f32_e32 v126, v0, v122
	v_fmac_f32_e32 v126, v1, v123
	v_fmac_f32_e32 v126, v2, v124
	v_fmac_f32_e32 v126, v3, v125
	ds_read_b128 v[0:3], v127 offset:2080
	s_waitcnt lgkmcnt(0)
	v_pk_mul_f32 v[0:1], v[122:123], v[0:1]
	buffer_store_dword v0, off, s[28:31], 0 offset:144 ; 4-byte Folded Spill
	s_nop 0
	buffer_store_dword v1, off, s[28:31], 0 offset:148 ; 4-byte Folded Spill
	v_pk_mul_f32 v[0:1], v[124:125], v[2:3]
	buffer_store_dword v0, off, s[28:31], 0 offset:160 ; 4-byte Folded Spill
	s_nop 0
	buffer_store_dword v1, off, s[28:31], 0 offset:164 ; 4-byte Folded Spill
	ds_read_b128 v[0:3], v127 offset:48
	s_waitcnt lgkmcnt(0)
	v_fmac_f32_e32 v126, v0, v60
	v_fmac_f32_e32 v126, v1, v61
	v_fmac_f32_e32 v126, v2, v62
	v_fmac_f32_e32 v126, v3, v63
	ds_read_b128 v[0:3], v127 offset:2096
	;; [unrolled: 16-line block ×6, first 2 shown]
	s_waitcnt lgkmcnt(0)
	v_pk_mul_f32 v[0:1], v[106:107], v[0:1]
	buffer_store_dword v0, off, s[28:31], 0 offset:232 ; 4-byte Folded Spill
	s_nop 0
	buffer_store_dword v1, off, s[28:31], 0 offset:236 ; 4-byte Folded Spill
	v_pk_mul_f32 v[0:1], v[108:109], v[2:3]
	buffer_store_dword v0, off, s[28:31], 0 offset:240 ; 4-byte Folded Spill
	s_nop 0
	buffer_store_dword v1, off, s[28:31], 0 offset:244 ; 4-byte Folded Spill
	ds_read_b128 v[0:3], v127 offset:128
	v_mov_b32_e32 v108, v36
	s_waitcnt lgkmcnt(0)
	v_fmac_f32_e32 v126, v0, v16
	v_fmac_f32_e32 v126, v1, v17
	v_fmac_f32_e32 v126, v2, v18
	v_fmac_f32_e32 v126, v3, v19
	ds_read_b128 v[0:3], v127 offset:2176
	s_waitcnt lgkmcnt(0)
	v_pk_mul_f32 v[0:1], v[16:17], v[0:1]
	buffer_store_dword v0, off, s[28:31], 0 offset:248 ; 4-byte Folded Spill
	s_nop 0
	buffer_store_dword v1, off, s[28:31], 0 offset:252 ; 4-byte Folded Spill
	v_pk_mul_f32 v[0:1], v[18:19], v[2:3]
	buffer_store_dword v0, off, s[28:31], 0 offset:256 ; 4-byte Folded Spill
	s_nop 0
	buffer_store_dword v1, off, s[28:31], 0 offset:260 ; 4-byte Folded Spill
	ds_read_b128 v[0:3], v127 offset:144
	s_waitcnt lgkmcnt(0)
	v_fmac_f32_e32 v126, v0, v102
	v_fmac_f32_e32 v126, v1, v103
	v_fmac_f32_e32 v126, v2, v104
	v_fmac_f32_e32 v126, v3, v105
	ds_read_b128 v[0:3], v127 offset:2192
	s_waitcnt lgkmcnt(0)
	v_pk_mul_f32 v[0:1], v[102:103], v[0:1]
	buffer_store_dword v0, off, s[28:31], 0 offset:264 ; 4-byte Folded Spill
	s_nop 0
	buffer_store_dword v1, off, s[28:31], 0 offset:268 ; 4-byte Folded Spill
	v_pk_mul_f32 v[0:1], v[104:105], v[2:3]
	buffer_store_dword v0, off, s[28:31], 0 offset:272 ; 4-byte Folded Spill
	s_nop 0
	buffer_store_dword v1, off, s[28:31], 0 offset:276 ; 4-byte Folded Spill
	ds_read_b128 v[0:3], v127 offset:160
	;; [unrolled: 16-line block ×12, first 2 shown]
	s_waitcnt lgkmcnt(0)
	v_fmac_f32_e32 v126, v0, v32
	v_fmac_f32_e32 v126, v1, v33
	v_fmac_f32_e32 v126, v2, v34
	v_fmac_f32_e32 v126, v3, v35
	ds_read_b128 v[0:3], v127 offset:2368
	s_waitcnt lgkmcnt(0)
	v_pk_mul_f32 v[122:123], v[32:33], v[0:1]
	v_pk_mul_f32 v[116:117], v[34:35], v[2:3]
	ds_read_b128 v[0:3], v127 offset:336
	s_waitcnt lgkmcnt(0)
	v_fmac_f32_e32 v126, v0, v54
	v_fmac_f32_e32 v126, v1, v55
	v_fmac_f32_e32 v126, v2, v56
	v_fmac_f32_e32 v126, v3, v57
	ds_read_b128 v[0:3], v127 offset:2384
	s_waitcnt lgkmcnt(0)
	v_pk_mul_f32 v[118:119], v[54:55], v[0:1]
	v_pk_mul_f32 v[112:113], v[56:57], v[2:3]
	ds_read_b128 v[0:3], v127 offset:352
	;; [unrolled: 10-line block ×6, first 2 shown]
	buffer_load_dword v4, off, s[28:31], 0 offset:128 ; 4-byte Folded Reload
	buffer_load_dword v5, off, s[28:31], 0 offset:132 ; 4-byte Folded Reload
	buffer_load_dword v6, off, s[28:31], 0 offset:136 ; 4-byte Folded Reload
	buffer_load_dword v7, off, s[28:31], 0 offset:140 ; 4-byte Folded Reload
	s_waitcnt vmcnt(3) lgkmcnt(0)
	v_fmac_f32_e32 v126, v0, v4
	s_waitcnt vmcnt(2)
	v_fmac_f32_e32 v126, v1, v5
	s_waitcnt vmcnt(1)
	v_fmac_f32_e32 v126, v2, v6
	s_waitcnt vmcnt(0)
	v_fmac_f32_e32 v126, v3, v7
	ds_read_b128 v[0:3], v127 offset:2464
	s_waitcnt lgkmcnt(0)
	v_pk_mul_f32 v[98:99], v[4:5], v[0:1]
	v_pk_mul_f32 v[94:95], v[6:7], v[2:3]
	ds_read_b128 v[0:3], v127 offset:432
	buffer_load_dword v4, off, s[28:31], 0 offset:112 ; 4-byte Folded Reload
	buffer_load_dword v5, off, s[28:31], 0 offset:116 ; 4-byte Folded Reload
	buffer_load_dword v6, off, s[28:31], 0 offset:120 ; 4-byte Folded Reload
	buffer_load_dword v7, off, s[28:31], 0 offset:124 ; 4-byte Folded Reload
	s_waitcnt vmcnt(3) lgkmcnt(0)
	v_fmac_f32_e32 v126, v0, v4
	s_waitcnt vmcnt(2)
	v_fmac_f32_e32 v126, v1, v5
	s_waitcnt vmcnt(1)
	v_fmac_f32_e32 v126, v2, v6
	s_waitcnt vmcnt(0)
	v_fmac_f32_e32 v126, v3, v7
	ds_read_b128 v[0:3], v127 offset:2480
	s_waitcnt lgkmcnt(0)
	v_pk_mul_f32 v[92:93], v[4:5], v[0:1]
	v_pk_mul_f32 v[88:89], v[6:7], v[2:3]
	ds_read_b128 v[0:3], v127 offset:448
	;; [unrolled: 17-line block ×5, first 2 shown]
	buffer_load_dword v8, off, s[28:31], 0 offset:48 ; 4-byte Folded Reload
	buffer_load_dword v9, off, s[28:31], 0 offset:52 ; 4-byte Folded Reload
	buffer_load_dword v10, off, s[28:31], 0 offset:56 ; 4-byte Folded Reload
	buffer_load_dword v11, off, s[28:31], 0 offset:60 ; 4-byte Folded Reload
	s_waitcnt vmcnt(3) lgkmcnt(0)
	v_fmac_f32_e32 v126, v0, v8
	s_waitcnt vmcnt(2)
	v_fmac_f32_e32 v126, v1, v9
	s_waitcnt vmcnt(1)
	;; [unrolled: 2-line block ×3, first 2 shown]
	v_fmac_f32_e32 v126, v3, v11
	ds_read_b128 v[0:3], v127 offset:2544
	s_waitcnt lgkmcnt(0)
	v_pk_mul_f32 v[70:71], v[10:11], v[2:3]
	buffer_load_dword v2, off, s[28:31], 0  ; 4-byte Folded Reload
	buffer_load_dword v3, off, s[28:31], 0 offset:4 ; 4-byte Folded Reload
	v_pk_mul_f32 v[72:73], v[8:9], v[0:1]
	v_mov_b32_e32 v1, s15
	ds_read_b128 v[8:11], v127 offset:1040
	s_waitcnt vmcnt(1)
	v_add_co_u32_e32 v0, vcc, s14, v2
	s_waitcnt vmcnt(0)
	v_addc_co_u32_e32 v1, vcc, v1, v3, vcc
	global_load_dword v0, v[0:1], off
	ds_read_b128 v[2:5], v127 offset:1024
	s_waitcnt vmcnt(0) lgkmcnt(0)
	v_pk_fma_f32 v[66:67], v[0:1], v[2:3], v[12:13] op_sel_hi:[0,1,1]
	buffer_load_dword v2, off, s[28:31], 0 offset:16 ; 4-byte Folded Reload
	buffer_load_dword v3, off, s[28:31], 0 offset:20 ; 4-byte Folded Reload
	v_pk_fma_f32 v[74:75], v[0:1], v[4:5], v[14:15] op_sel_hi:[0,1,1]
	s_waitcnt vmcnt(0)
	v_pk_fma_f32 v[8:9], v[0:1], v[8:9], v[2:3] op_sel_hi:[0,1,1]
	buffer_load_dword v2, off, s[28:31], 0 offset:32 ; 4-byte Folded Reload
	buffer_load_dword v3, off, s[28:31], 0 offset:36 ; 4-byte Folded Reload
	ds_read_b128 v[12:15], v127 offset:1056
	s_waitcnt vmcnt(0)
	v_pk_fma_f32 v[10:11], v[0:1], v[10:11], v[2:3] op_sel_hi:[0,1,1]
	buffer_load_dword v2, off, s[28:31], 0 offset:144 ; 4-byte Folded Reload
	buffer_load_dword v3, off, s[28:31], 0 offset:148 ; 4-byte Folded Reload
	s_waitcnt vmcnt(0) lgkmcnt(0)
	v_pk_fma_f32 v[12:13], v[0:1], v[12:13], v[2:3] op_sel_hi:[0,1,1]
	buffer_load_dword v2, off, s[28:31], 0 offset:160 ; 4-byte Folded Reload
	buffer_load_dword v3, off, s[28:31], 0 offset:164 ; 4-byte Folded Reload
	ds_read_b128 v[16:19], v127 offset:1072
	s_waitcnt vmcnt(0)
	v_pk_fma_f32 v[14:15], v[0:1], v[14:15], v[2:3] op_sel_hi:[0,1,1]
	buffer_load_dword v2, off, s[28:31], 0 offset:168 ; 4-byte Folded Reload
	buffer_load_dword v3, off, s[28:31], 0 offset:172 ; 4-byte Folded Reload
	s_waitcnt vmcnt(0) lgkmcnt(0)
	;; [unrolled: 9-line block ×13, first 2 shown]
	v_pk_fma_f32 v[76:77], v[0:1], v[60:61], v[2:3] op_sel_hi:[0,1,1]
	buffer_load_dword v2, off, s[28:31], 0 offset:360 ; 4-byte Folded Reload
	buffer_load_dword v3, off, s[28:31], 0 offset:364 ; 4-byte Folded Reload
	s_waitcnt vmcnt(0)
	v_pk_fma_f32 v[78:79], v[0:1], v[62:63], v[2:3] op_sel_hi:[0,1,1]
	ds_read_b128 v[2:5], v127 offset:1264
	buffer_load_dword v64, off, s[28:31], 0 offset:368 ; 4-byte Folded Reload
	buffer_load_dword v65, off, s[28:31], 0 offset:372 ; 4-byte Folded Reload
	s_waitcnt vmcnt(0) lgkmcnt(0)
	v_pk_fma_f32 v[64:65], v[0:1], v[2:3], v[64:65] op_sel_hi:[0,1,1]
	buffer_load_dword v2, off, s[28:31], 0 offset:376 ; 4-byte Folded Reload
	buffer_load_dword v3, off, s[28:31], 0 offset:380 ; 4-byte Folded Reload
	s_waitcnt vmcnt(0)
	v_pk_fma_f32 v[68:69], v[0:1], v[4:5], v[2:3] op_sel_hi:[0,1,1]
	ds_read_b128 v[2:5], v127 offset:1280
	buffer_load_dword v124, off, s[28:31], 0 offset:384 ; 4-byte Folded Reload
	buffer_load_dword v125, off, s[28:31], 0 offset:388 ; 4-byte Folded Reload
	s_waitcnt vmcnt(0) lgkmcnt(0)
	v_pk_fma_f32 v[2:3], v[0:1], v[2:3], v[124:125] op_sel_hi:[0,1,1]
	buffer_store_dword v2, off, s[28:31], 0 offset:16 ; 4-byte Folded Spill
	s_nop 0
	buffer_store_dword v3, off, s[28:31], 0 offset:20 ; 4-byte Folded Spill
	buffer_load_dword v2, off, s[28:31], 0 offset:392 ; 4-byte Folded Reload
	s_nop 0
	buffer_load_dword v3, off, s[28:31], 0 offset:396 ; 4-byte Folded Reload
	s_waitcnt vmcnt(0)
	v_pk_fma_f32 v[2:3], v[0:1], v[4:5], v[2:3] op_sel_hi:[0,1,1]
	buffer_store_dword v2, off, s[28:31], 0 offset:32 ; 4-byte Folded Spill
	s_nop 0
	buffer_store_dword v3, off, s[28:31], 0 offset:36 ; 4-byte Folded Spill
	ds_read_b128 v[2:5], v127 offset:1296
	buffer_load_dword v124, off, s[28:31], 0 offset:400 ; 4-byte Folded Reload
	buffer_load_dword v125, off, s[28:31], 0 offset:404 ; 4-byte Folded Reload
	s_waitcnt vmcnt(0) lgkmcnt(0)
	v_pk_fma_f32 v[2:3], v[0:1], v[2:3], v[124:125] op_sel_hi:[0,1,1]
	buffer_store_dword v2, off, s[28:31], 0 offset:48 ; 4-byte Folded Spill
	s_nop 0
	buffer_store_dword v3, off, s[28:31], 0 offset:52 ; 4-byte Folded Spill
	buffer_load_dword v2, off, s[28:31], 0 offset:408 ; 4-byte Folded Reload
	s_nop 0
	buffer_load_dword v3, off, s[28:31], 0 offset:412 ; 4-byte Folded Reload
	s_waitcnt vmcnt(0)
	v_pk_fma_f32 v[2:3], v[0:1], v[4:5], v[2:3] op_sel_hi:[0,1,1]
	buffer_store_dword v2, off, s[28:31], 0 offset:64 ; 4-byte Folded Spill
	s_nop 0
	buffer_store_dword v3, off, s[28:31], 0 offset:68 ; 4-byte Folded Spill
	;; [unrolled: 16-line block ×4, first 2 shown]
	ds_read_b128 v[2:5], v127 offset:1344
	s_waitcnt lgkmcnt(0)
	v_pk_fma_f32 v[2:3], v[0:1], v[2:3], v[122:123] op_sel_hi:[0,1,1]
	buffer_store_dword v2, off, s[28:31], 0 offset:144 ; 4-byte Folded Spill
	s_nop 0
	buffer_store_dword v3, off, s[28:31], 0 offset:148 ; 4-byte Folded Spill
	v_pk_fma_f32 v[2:3], v[0:1], v[4:5], v[116:117] op_sel_hi:[0,1,1]
	buffer_store_dword v2, off, s[28:31], 0 offset:160 ; 4-byte Folded Spill
	s_nop 0
	buffer_store_dword v3, off, s[28:31], 0 offset:164 ; 4-byte Folded Spill
	ds_read_b128 v[2:5], v127 offset:1360
	s_waitcnt lgkmcnt(0)
	v_pk_fma_f32 v[2:3], v[0:1], v[2:3], v[118:119] op_sel_hi:[0,1,1]
	buffer_store_dword v2, off, s[28:31], 0 offset:168 ; 4-byte Folded Spill
	s_nop 0
	buffer_store_dword v3, off, s[28:31], 0 offset:172 ; 4-byte Folded Spill
	v_pk_fma_f32 v[2:3], v[0:1], v[4:5], v[112:113] op_sel_hi:[0,1,1]
	buffer_store_dword v2, off, s[28:31], 0 offset:176 ; 4-byte Folded Spill
	s_nop 0
	buffer_store_dword v3, off, s[28:31], 0 offset:180 ; 4-byte Folded Spill
	;; [unrolled: 10-line block ×11, first 2 shown]
	ds_read_b128 v[2:5], v127 offset:1520
	s_waitcnt lgkmcnt(0)
	v_pk_fma_f32 v[2:3], v[0:1], v[2:3], v[72:73] op_sel_hi:[0,1,1]
	buffer_store_dword v2, off, s[28:31], 0 offset:328 ; 4-byte Folded Spill
	s_nop 0
	buffer_store_dword v3, off, s[28:31], 0 offset:332 ; 4-byte Folded Spill
	v_pk_fma_f32 v[0:1], v[0:1], v[4:5], v[70:71] op_sel_hi:[0,1,1]
	ds_read_b128 v[2:5], v127 offset:512
	ds_read_b128 v[70:73], v127 offset:528
	s_waitcnt lgkmcnt(1)
	v_pk_fma_f32 v[120:121], v[126:127], v[4:5], v[74:75] op_sel_hi:[0,1,1]
	s_waitcnt lgkmcnt(0)
	v_pk_fma_f32 v[4:5], v[126:127], v[70:71], v[8:9] op_sel_hi:[0,1,1]
	v_pk_fma_f32 v[6:7], v[126:127], v[72:73], v[10:11] op_sel_hi:[0,1,1]
	ds_read_b128 v[8:11], v127 offset:544
	v_pk_fma_f32 v[118:119], v[126:127], v[2:3], v[66:67] op_sel_hi:[0,1,1]
	v_mov_b32_e32 v2, v108
	v_add_u32_e32 v2, s2, v2
	s_waitcnt lgkmcnt(0)
	v_pk_fma_f32 v[122:123], v[126:127], v[8:9], v[12:13] op_sel_hi:[0,1,1]
	v_pk_fma_f32 v[124:125], v[126:127], v[10:11], v[14:15] op_sel_hi:[0,1,1]
	ds_read_b128 v[8:11], v127 offset:560
	s_waitcnt lgkmcnt(0)
	v_pk_fma_f32 v[60:61], v[126:127], v[8:9], v[16:17] op_sel_hi:[0,1,1]
	v_pk_fma_f32 v[62:63], v[126:127], v[10:11], v[18:19] op_sel_hi:[0,1,1]
	ds_read_b128 v[8:11], v127 offset:576
	;; [unrolled: 4-line block ×14, first 2 shown]
	buffer_load_dword v12, off, s[28:31], 0 offset:16 ; 4-byte Folded Reload
	buffer_load_dword v13, off, s[28:31], 0 offset:20 ; 4-byte Folded Reload
	s_waitcnt vmcnt(0) lgkmcnt(0)
	v_pk_fma_f32 v[74:75], v[126:127], v[8:9], v[12:13] op_sel_hi:[0,1,1]
	buffer_load_dword v8, off, s[28:31], 0 offset:32 ; 4-byte Folded Reload
	buffer_load_dword v9, off, s[28:31], 0 offset:36 ; 4-byte Folded Reload
	s_waitcnt vmcnt(0)
	v_pk_fma_f32 v[76:77], v[126:127], v[10:11], v[8:9] op_sel_hi:[0,1,1]
	ds_read_b128 v[8:11], v127 offset:784
	buffer_load_dword v12, off, s[28:31], 0 offset:48 ; 4-byte Folded Reload
	buffer_load_dword v13, off, s[28:31], 0 offset:52 ; 4-byte Folded Reload
	s_waitcnt vmcnt(0) lgkmcnt(0)
	v_pk_fma_f32 v[70:71], v[126:127], v[8:9], v[12:13] op_sel_hi:[0,1,1]
	buffer_load_dword v8, off, s[28:31], 0 offset:64 ; 4-byte Folded Reload
	buffer_load_dword v9, off, s[28:31], 0 offset:68 ; 4-byte Folded Reload
	s_waitcnt vmcnt(0)
	v_pk_fma_f32 v[72:73], v[126:127], v[10:11], v[8:9] op_sel_hi:[0,1,1]
	ds_read_b128 v[8:11], v127 offset:800
	;; [unrolled: 9-line block ×4, first 2 shown]
	buffer_load_dword v12, off, s[28:31], 0 offset:144 ; 4-byte Folded Reload
	buffer_load_dword v13, off, s[28:31], 0 offset:148 ; 4-byte Folded Reload
	s_waitcnt vmcnt(0) lgkmcnt(0)
	v_pk_fma_f32 v[8:9], v[126:127], v[8:9], v[12:13] op_sel_hi:[0,1,1]
	buffer_load_dword v12, off, s[28:31], 0 offset:160 ; 4-byte Folded Reload
	buffer_load_dword v13, off, s[28:31], 0 offset:164 ; 4-byte Folded Reload
	s_waitcnt vmcnt(0)
	v_pk_fma_f32 v[10:11], v[126:127], v[10:11], v[12:13] op_sel_hi:[0,1,1]
	buffer_store_dword v8, off, s[28:31], 0 offset:32 ; 4-byte Folded Spill
	s_nop 0
	buffer_store_dword v9, off, s[28:31], 0 offset:36 ; 4-byte Folded Spill
	buffer_store_dword v10, off, s[28:31], 0 offset:40 ; 4-byte Folded Spill
	buffer_store_dword v11, off, s[28:31], 0 offset:44 ; 4-byte Folded Spill
	ds_read_b128 v[8:11], v127 offset:848
	buffer_load_dword v12, off, s[28:31], 0 offset:168 ; 4-byte Folded Reload
	buffer_load_dword v13, off, s[28:31], 0 offset:172 ; 4-byte Folded Reload
	s_waitcnt vmcnt(0) lgkmcnt(0)
	v_pk_fma_f32 v[8:9], v[126:127], v[8:9], v[12:13] op_sel_hi:[0,1,1]
	buffer_load_dword v12, off, s[28:31], 0 offset:176 ; 4-byte Folded Reload
	buffer_load_dword v13, off, s[28:31], 0 offset:180 ; 4-byte Folded Reload
	s_waitcnt vmcnt(0)
	v_pk_fma_f32 v[10:11], v[126:127], v[10:11], v[12:13] op_sel_hi:[0,1,1]
	buffer_store_dword v8, off, s[28:31], 0 offset:16 ; 4-byte Folded Spill
	s_nop 0
	buffer_store_dword v9, off, s[28:31], 0 offset:20 ; 4-byte Folded Spill
	buffer_store_dword v10, off, s[28:31], 0 offset:24 ; 4-byte Folded Spill
	buffer_store_dword v11, off, s[28:31], 0 offset:28 ; 4-byte Folded Spill
	ds_read_b128 v[8:11], v127 offset:864
	;; [unrolled: 14-line block ×3, first 2 shown]
	buffer_load_dword v12, off, s[28:31], 0 offset:200 ; 4-byte Folded Reload
	buffer_load_dword v13, off, s[28:31], 0 offset:204 ; 4-byte Folded Reload
	s_waitcnt vmcnt(0) lgkmcnt(0)
	v_pk_fma_f32 v[56:57], v[126:127], v[8:9], v[12:13] op_sel_hi:[0,1,1]
	buffer_load_dword v8, off, s[28:31], 0 offset:208 ; 4-byte Folded Reload
	buffer_load_dword v9, off, s[28:31], 0 offset:212 ; 4-byte Folded Reload
	s_waitcnt vmcnt(0)
	v_pk_fma_f32 v[58:59], v[126:127], v[10:11], v[8:9] op_sel_hi:[0,1,1]
	ds_read_b128 v[8:11], v127 offset:896
	buffer_load_dword v12, off, s[28:31], 0 offset:216 ; 4-byte Folded Reload
	buffer_load_dword v13, off, s[28:31], 0 offset:220 ; 4-byte Folded Reload
	s_waitcnt vmcnt(0) lgkmcnt(0)
	v_pk_fma_f32 v[52:53], v[126:127], v[8:9], v[12:13] op_sel_hi:[0,1,1]
	buffer_load_dword v8, off, s[28:31], 0 offset:224 ; 4-byte Folded Reload
	buffer_load_dword v9, off, s[28:31], 0 offset:228 ; 4-byte Folded Reload
	s_waitcnt vmcnt(0)
	v_pk_fma_f32 v[54:55], v[126:127], v[10:11], v[8:9] op_sel_hi:[0,1,1]
	ds_read_b128 v[8:11], v127 offset:912
	;; [unrolled: 9-line block ×3, first 2 shown]
	buffer_load_dword v12, off, s[28:31], 0 offset:248 ; 4-byte Folded Reload
	buffer_load_dword v13, off, s[28:31], 0 offset:252 ; 4-byte Folded Reload
	s_waitcnt vmcnt(0) lgkmcnt(0)
	v_pk_fma_f32 v[44:45], v[126:127], v[8:9], v[12:13] op_sel_hi:[0,1,1]
	buffer_load_dword v8, off, s[28:31], 0 offset:256 ; 4-byte Folded Reload
	buffer_load_dword v9, off, s[28:31], 0 offset:260 ; 4-byte Folded Reload
	s_waitcnt vmcnt(0)
	v_pk_fma_f32 v[46:47], v[126:127], v[10:11], v[8:9] op_sel_hi:[0,1,1]
	buffer_store_dword v44, off, s[28:31], 0 offset:128 ; 4-byte Folded Spill
	s_nop 0
	buffer_store_dword v45, off, s[28:31], 0 offset:132 ; 4-byte Folded Spill
	buffer_store_dword v46, off, s[28:31], 0 offset:136 ; 4-byte Folded Spill
	;; [unrolled: 1-line block ×3, first 2 shown]
	ds_read_b128 v[8:11], v127 offset:944
	buffer_load_dword v12, off, s[28:31], 0 offset:264 ; 4-byte Folded Reload
	buffer_load_dword v13, off, s[28:31], 0 offset:268 ; 4-byte Folded Reload
	s_waitcnt vmcnt(0) lgkmcnt(0)
	v_pk_fma_f32 v[40:41], v[126:127], v[8:9], v[12:13] op_sel_hi:[0,1,1]
	buffer_load_dword v8, off, s[28:31], 0 offset:272 ; 4-byte Folded Reload
	buffer_load_dword v9, off, s[28:31], 0 offset:276 ; 4-byte Folded Reload
	s_waitcnt vmcnt(0)
	v_pk_fma_f32 v[42:43], v[126:127], v[10:11], v[8:9] op_sel_hi:[0,1,1]
	buffer_store_dword v40, off, s[28:31], 0 offset:112 ; 4-byte Folded Spill
	s_nop 0
	buffer_store_dword v41, off, s[28:31], 0 offset:116 ; 4-byte Folded Spill
	buffer_store_dword v42, off, s[28:31], 0 offset:120 ; 4-byte Folded Spill
	;; [unrolled: 1-line block ×3, first 2 shown]
	ds_read_b128 v[8:11], v127 offset:960
	buffer_load_dword v12, off, s[28:31], 0 offset:280 ; 4-byte Folded Reload
	buffer_load_dword v13, off, s[28:31], 0 offset:284 ; 4-byte Folded Reload
	s_waitcnt vmcnt(0) lgkmcnt(0)
	v_pk_fma_f32 v[12:13], v[126:127], v[8:9], v[12:13] op_sel_hi:[0,1,1]
	buffer_load_dword v8, off, s[28:31], 0 offset:288 ; 4-byte Folded Reload
	buffer_load_dword v9, off, s[28:31], 0 offset:292 ; 4-byte Folded Reload
	s_waitcnt vmcnt(0)
	v_pk_fma_f32 v[14:15], v[126:127], v[10:11], v[8:9] op_sel_hi:[0,1,1]
	ds_read_b128 v[8:11], v127 offset:976
	buffer_load_dword v28, off, s[28:31], 0 offset:296 ; 4-byte Folded Reload
	buffer_load_dword v29, off, s[28:31], 0 offset:300 ; 4-byte Folded Reload
	s_waitcnt vmcnt(0) lgkmcnt(0)
	v_pk_fma_f32 v[28:29], v[126:127], v[8:9], v[28:29] op_sel_hi:[0,1,1]
	buffer_load_dword v8, off, s[28:31], 0 offset:304 ; 4-byte Folded Reload
	buffer_load_dword v9, off, s[28:31], 0 offset:308 ; 4-byte Folded Reload
	s_waitcnt vmcnt(0)
	v_pk_fma_f32 v[30:31], v[126:127], v[10:11], v[8:9] op_sel_hi:[0,1,1]
	;; [unrolled: 9-line block ×3, first 2 shown]
	ds_read_b128 v[8:11], v127 offset:1008
	buffer_load_dword v36, off, s[28:31], 0 offset:328 ; 4-byte Folded Reload
	buffer_load_dword v37, off, s[28:31], 0 offset:332 ; 4-byte Folded Reload
	s_waitcnt lgkmcnt(0)
	v_pk_fma_f32 v[38:39], v[126:127], v[10:11], v[0:1] op_sel_hi:[0,1,1]
	v_mov_b32_e32 v1, s23
	s_waitcnt vmcnt(0)
	v_pk_fma_f32 v[36:37], v[126:127], v[8:9], v[36:37] op_sel_hi:[0,1,1]
	ds_read_b128 v[8:11], v127 offset:1536
	s_waitcnt lgkmcnt(0)
	v_fma_f32 v0, v118, v8, 0
	v_fmac_f32_e32 v0, v119, v9
	v_fmac_f32_e32 v0, v120, v10
	v_fmac_f32_e32 v0, v121, v11
	ds_read_b128 v[8:11], v127 offset:1552
	s_waitcnt lgkmcnt(0)
	v_fmac_f32_e32 v0, v4, v8
	v_fmac_f32_e32 v0, v5, v9
	v_fmac_f32_e32 v0, v6, v10
	v_fmac_f32_e32 v0, v7, v11
	ds_read_b128 v[8:11], v127 offset:1568
	s_waitcnt lgkmcnt(0)
	v_fmac_f32_e32 v0, v122, v8
	;; [unrolled: 6-line block ×18, first 2 shown]
	v_fmac_f32_e32 v0, v67, v9
	v_fmac_f32_e32 v0, v68, v10
	;; [unrolled: 1-line block ×3, first 2 shown]
	ds_read_b128 v[8:11], v127 offset:1840
	buffer_store_dword v110, off, s[28:31], 0 offset:336 ; 4-byte Folded Spill
	s_nop 0
	buffer_store_dword v111, off, s[28:31], 0 offset:340 ; 4-byte Folded Spill
	buffer_store_dword v112, off, s[28:31], 0 offset:344 ; 4-byte Folded Spill
	buffer_store_dword v113, off, s[28:31], 0 offset:348 ; 4-byte Folded Spill
	s_waitcnt lgkmcnt(0)
	v_fmac_f32_e32 v0, v110, v8
	v_fmac_f32_e32 v0, v111, v9
	;; [unrolled: 1-line block ×4, first 2 shown]
	ds_read_b128 v[8:11], v127 offset:1856
	buffer_load_dword v110, off, s[28:31], 0 offset:32 ; 4-byte Folded Reload
	buffer_load_dword v111, off, s[28:31], 0 offset:36 ; 4-byte Folded Reload
	buffer_load_dword v112, off, s[28:31], 0 offset:40 ; 4-byte Folded Reload
	buffer_load_dword v113, off, s[28:31], 0 offset:44 ; 4-byte Folded Reload
	s_waitcnt vmcnt(3) lgkmcnt(0)
	v_fmac_f32_e32 v0, v110, v8
	s_waitcnt vmcnt(2)
	v_fmac_f32_e32 v0, v111, v9
	s_waitcnt vmcnt(1)
	v_fmac_f32_e32 v0, v112, v10
	s_waitcnt vmcnt(0)
	v_fmac_f32_e32 v0, v113, v11
	ds_read_b128 v[8:11], v127 offset:1872
	buffer_load_dword v110, off, s[28:31], 0 offset:16 ; 4-byte Folded Reload
	buffer_load_dword v111, off, s[28:31], 0 offset:20 ; 4-byte Folded Reload
	buffer_load_dword v112, off, s[28:31], 0 offset:24 ; 4-byte Folded Reload
	buffer_load_dword v113, off, s[28:31], 0 offset:28 ; 4-byte Folded Reload
	s_waitcnt vmcnt(3) lgkmcnt(0)
	v_fmac_f32_e32 v0, v110, v8
	s_waitcnt vmcnt(2)
	v_fmac_f32_e32 v0, v111, v9
	s_waitcnt vmcnt(1)
	v_fmac_f32_e32 v0, v112, v10
	s_waitcnt vmcnt(0)
	v_fmac_f32_e32 v0, v113, v11
	;; [unrolled: 13-line block ×3, first 2 shown]
	ds_read_b128 v[8:11], v127 offset:1904
	s_waitcnt lgkmcnt(0)
	v_fmac_f32_e32 v0, v56, v8
	v_fmac_f32_e32 v0, v57, v9
	v_fmac_f32_e32 v0, v58, v10
	v_fmac_f32_e32 v0, v59, v11
	ds_read_b128 v[8:11], v127 offset:1920
	s_waitcnt lgkmcnt(0)
	v_fmac_f32_e32 v0, v52, v8
	v_fmac_f32_e32 v0, v53, v9
	v_fmac_f32_e32 v0, v54, v10
	v_fmac_f32_e32 v0, v55, v11
	;; [unrolled: 6-line block ×5, first 2 shown]
	ds_read_b128 v[8:11], v127 offset:1984
	v_pk_mov_b32 v[42:43], v[52:53], v[52:53] op_sel:[0,1]
	v_pk_mov_b32 v[44:45], v[54:55], v[54:55] op_sel:[0,1]
	s_waitcnt lgkmcnt(0)
	v_fmac_f32_e32 v0, v12, v8
	v_fmac_f32_e32 v0, v13, v9
	v_fmac_f32_e32 v0, v14, v10
	buffer_store_dword v12, off, s[28:31], 0 offset:96 ; 4-byte Folded Spill
	s_nop 0
	buffer_store_dword v13, off, s[28:31], 0 offset:100 ; 4-byte Folded Spill
	buffer_store_dword v14, off, s[28:31], 0 offset:104 ; 4-byte Folded Spill
	buffer_store_dword v15, off, s[28:31], 0 offset:108 ; 4-byte Folded Spill
	v_fmac_f32_e32 v0, v15, v11
	ds_read_b128 v[8:11], v127 offset:2000
	s_waitcnt lgkmcnt(0)
	v_fmac_f32_e32 v0, v28, v8
	v_fmac_f32_e32 v0, v29, v9
	v_fmac_f32_e32 v0, v30, v10
	buffer_store_dword v28, off, s[28:31], 0 offset:80 ; 4-byte Folded Spill
	s_nop 0
	buffer_store_dword v29, off, s[28:31], 0 offset:84 ; 4-byte Folded Spill
	buffer_store_dword v30, off, s[28:31], 0 offset:88 ; 4-byte Folded Spill
	buffer_store_dword v31, off, s[28:31], 0 offset:92 ; 4-byte Folded Spill
	v_fmac_f32_e32 v0, v31, v11
	ds_read_b128 v[8:11], v127 offset:2016
	;; [unrolled: 11-line block ×3, first 2 shown]
	s_waitcnt lgkmcnt(0)
	v_fmac_f32_e32 v0, v36, v8
	v_fmac_f32_e32 v0, v37, v9
	;; [unrolled: 1-line block ×3, first 2 shown]
	buffer_store_dword v36, off, s[28:31], 0 offset:48 ; 4-byte Folded Spill
	s_nop 0
	buffer_store_dword v37, off, s[28:31], 0 offset:52 ; 4-byte Folded Spill
	buffer_store_dword v38, off, s[28:31], 0 offset:56 ; 4-byte Folded Spill
	;; [unrolled: 1-line block ×3, first 2 shown]
	buffer_load_dword v28, off, s[28:31], 0 offset:336 ; 4-byte Folded Reload
	buffer_load_dword v29, off, s[28:31], 0 offset:340 ; 4-byte Folded Reload
	buffer_load_dword v30, off, s[28:31], 0 offset:344 ; 4-byte Folded Reload
	buffer_load_dword v31, off, s[28:31], 0 offset:348 ; 4-byte Folded Reload
	v_mov_b32_e32 v36, v2
	v_fmac_f32_e32 v0, v39, v11
	v_pk_mov_b32 v[38:39], v[48:49], v[48:49] op_sel:[0,1]
	v_pk_mov_b32 v[40:41], v[50:51], v[50:51] op_sel:[0,1]
	v_pk_mov_b32 v[46:47], v[56:57], v[56:57] op_sel:[0,1]
	v_pk_mov_b32 v[48:49], v[58:59], v[58:59] op_sel:[0,1]
	buffer_load_dword v32, off, s[28:31], 0 offset:32 ; 4-byte Folded Reload
	buffer_load_dword v33, off, s[28:31], 0 offset:36 ; 4-byte Folded Reload
	buffer_load_dword v34, off, s[28:31], 0 offset:40 ; 4-byte Folded Reload
	buffer_load_dword v35, off, s[28:31], 0 offset:44 ; 4-byte Folded Reload
	buffer_load_dword v54, off, s[28:31], 0 offset:16 ; 4-byte Folded Reload
	buffer_load_dword v55, off, s[28:31], 0 offset:20 ; 4-byte Folded Reload
	buffer_load_dword v56, off, s[28:31], 0 offset:24 ; 4-byte Folded Reload
	buffer_load_dword v57, off, s[28:31], 0 offset:28 ; 4-byte Folded Reload
	buffer_load_dword v12, off, s[28:31], 0 ; 4-byte Folded Reload
	buffer_load_dword v13, off, s[28:31], 0 offset:4 ; 4-byte Folded Reload
	v_pk_mov_b32 v[50:51], v[110:111], v[110:111] op_sel:[0,1]
	v_pk_mov_b32 v[52:53], v[112:113], v[112:113] op_sel:[0,1]
	s_waitcnt vmcnt(1)
	v_add_co_u32_e32 v8, vcc, s22, v12
	s_waitcnt vmcnt(0)
	v_addc_co_u32_e32 v9, vcc, v1, v13, vcc
	buffer_load_dword v1, off, s[28:31], 0 offset:448 ; 4-byte Folded Reload
	v_add_co_u32_e32 v12, vcc, s20, v12
	global_store_dword v[8:9], v0, off
	v_mov_b32_e32 v0, s21
	v_addc_co_u32_e32 v13, vcc, v13, v0, vcc
	s_waitcnt vmcnt(1)
	v_cmp_ge_i32_e32 vcc, v2, v1
	s_or_b64 s[6:7], vcc, s[6:7]
	s_andn2_b64 exec, exec, s[6:7]
	s_cbranch_execnz .LBB3_2
; %bb.3:
	s_or_b64 exec, exec, s[6:7]
	buffer_store_dword v4, off, s[28:31], 0 ; 4-byte Folded Spill
	s_nop 0
	buffer_store_dword v5, off, s[28:31], 0 offset:4 ; 4-byte Folded Spill
	buffer_store_dword v6, off, s[28:31], 0 offset:8 ; 4-byte Folded Spill
	;; [unrolled: 1-line block ×3, first 2 shown]
	buffer_load_dword v6, off, s[28:31], 0 offset:472 ; 4-byte Folded Reload
	s_nop 0
	buffer_load_dword v7, off, s[28:31], 0 offset:476 ; 4-byte Folded Reload
	v_pk_mov_b32 v[8:9], v[118:119], v[118:119] op_sel:[0,1]
	v_pk_mov_b32 v[10:11], v[120:121], v[120:121] op_sel:[0,1]
	;; [unrolled: 1-line block ×4, first 2 shown]
.LBB3_4:
	s_or_b64 exec, exec, s[4:5]
	s_mul_i32 s0, s2, s1
	s_waitcnt vmcnt(1)
	v_add_u32_e32 v0, s0, v6
	v_ashrrev_i32_e32 v1, 31, v0
	v_lshlrev_b64 v[0:1], 2, v[0:1]
	v_mov_b32_e32 v6, s23
	v_add_co_u32_e32 v0, vcc, s22, v0
	v_addc_co_u32_e32 v1, vcc, v6, v1, vcc
	global_store_dwordx4 v[0:1], v[8:11], off
	buffer_load_dword v2, off, s[28:31], 0  ; 4-byte Folded Reload
	buffer_load_dword v3, off, s[28:31], 0 offset:4 ; 4-byte Folded Reload
	buffer_load_dword v4, off, s[28:31], 0 offset:8 ; 4-byte Folded Reload
	;; [unrolled: 1-line block ×3, first 2 shown]
	s_waitcnt vmcnt(0)
	global_store_dwordx4 v[0:1], v[2:5], off offset:16
	global_store_dwordx4 v[0:1], v[122:125], off offset:32
	;; [unrolled: 1-line block ×25, first 2 shown]
	buffer_load_dword v2, off, s[28:31], 0 offset:128 ; 4-byte Folded Reload
	buffer_load_dword v3, off, s[28:31], 0 offset:132 ; 4-byte Folded Reload
	;; [unrolled: 1-line block ×4, first 2 shown]
	s_waitcnt vmcnt(0)
	global_store_dwordx4 v[0:1], v[2:5], off offset:416
	buffer_load_dword v2, off, s[28:31], 0 offset:112 ; 4-byte Folded Reload
	s_nop 0
	buffer_load_dword v3, off, s[28:31], 0 offset:116 ; 4-byte Folded Reload
	buffer_load_dword v4, off, s[28:31], 0 offset:120 ; 4-byte Folded Reload
	buffer_load_dword v5, off, s[28:31], 0 offset:124 ; 4-byte Folded Reload
	s_waitcnt vmcnt(0)
	global_store_dwordx4 v[0:1], v[2:5], off offset:432
	buffer_load_dword v2, off, s[28:31], 0 offset:96 ; 4-byte Folded Reload
	s_nop 0
	buffer_load_dword v3, off, s[28:31], 0 offset:100 ; 4-byte Folded Reload
	buffer_load_dword v4, off, s[28:31], 0 offset:104 ; 4-byte Folded Reload
	buffer_load_dword v5, off, s[28:31], 0 offset:108 ; 4-byte Folded Reload
	;; [unrolled: 7-line block ×5, first 2 shown]
	s_waitcnt vmcnt(0)
	global_store_dwordx4 v[0:1], v[2:5], off offset:496
	s_endpgm
	.section	.rodata,"a",@progbits
	.p2align	6, 0x0
	.amdhsa_kernel _ZL13rwkv_wkv7_f32ILi128EEviiiiPKfS1_S1_S1_S1_S1_S1_Pf
		.amdhsa_group_segment_fixed_size 2560
		.amdhsa_private_segment_fixed_size 484
		.amdhsa_kernarg_size 80
		.amdhsa_user_sgpr_count 6
		.amdhsa_user_sgpr_private_segment_buffer 1
		.amdhsa_user_sgpr_dispatch_ptr 0
		.amdhsa_user_sgpr_queue_ptr 0
		.amdhsa_user_sgpr_kernarg_segment_ptr 1
		.amdhsa_user_sgpr_dispatch_id 0
		.amdhsa_user_sgpr_flat_scratch_init 0
		.amdhsa_user_sgpr_kernarg_preload_length 0
		.amdhsa_user_sgpr_kernarg_preload_offset 0
		.amdhsa_user_sgpr_private_segment_size 0
		.amdhsa_uses_dynamic_stack 0
		.amdhsa_system_sgpr_private_segment_wavefront_offset 1
		.amdhsa_system_sgpr_workgroup_id_x 1
		.amdhsa_system_sgpr_workgroup_id_y 0
		.amdhsa_system_sgpr_workgroup_id_z 0
		.amdhsa_system_sgpr_workgroup_info 0
		.amdhsa_system_vgpr_workitem_id 0
		.amdhsa_next_free_vgpr 128
		.amdhsa_next_free_sgpr 32
		.amdhsa_accum_offset 128
		.amdhsa_reserve_vcc 1
		.amdhsa_reserve_flat_scratch 0
		.amdhsa_float_round_mode_32 0
		.amdhsa_float_round_mode_16_64 0
		.amdhsa_float_denorm_mode_32 3
		.amdhsa_float_denorm_mode_16_64 3
		.amdhsa_dx10_clamp 1
		.amdhsa_ieee_mode 1
		.amdhsa_fp16_overflow 0
		.amdhsa_tg_split 0
		.amdhsa_exception_fp_ieee_invalid_op 0
		.amdhsa_exception_fp_denorm_src 0
		.amdhsa_exception_fp_ieee_div_zero 0
		.amdhsa_exception_fp_ieee_overflow 0
		.amdhsa_exception_fp_ieee_underflow 0
		.amdhsa_exception_fp_ieee_inexact 0
		.amdhsa_exception_int_div_zero 0
	.end_amdhsa_kernel
	.section	.text._ZL13rwkv_wkv7_f32ILi128EEviiiiPKfS1_S1_S1_S1_S1_S1_Pf,"axG",@progbits,_ZL13rwkv_wkv7_f32ILi128EEviiiiPKfS1_S1_S1_S1_S1_S1_Pf,comdat
.Lfunc_end3:
	.size	_ZL13rwkv_wkv7_f32ILi128EEviiiiPKfS1_S1_S1_S1_S1_S1_Pf, .Lfunc_end3-_ZL13rwkv_wkv7_f32ILi128EEviiiiPKfS1_S1_S1_S1_S1_S1_Pf
                                        ; -- End function
	.section	.AMDGPU.csdata,"",@progbits
; Kernel info:
; codeLenInByte = 10216
; NumSgprs: 36
; NumVgprs: 128
; NumAgprs: 0
; TotalNumVgprs: 128
; ScratchSize: 484
; MemoryBound: 1
; FloatMode: 240
; IeeeMode: 1
; LDSByteSize: 2560 bytes/workgroup (compile time only)
; SGPRBlocks: 4
; VGPRBlocks: 15
; NumSGPRsForWavesPerEU: 36
; NumVGPRsForWavesPerEU: 128
; AccumOffset: 128
; Occupancy: 4
; WaveLimiterHint : 0
; COMPUTE_PGM_RSRC2:SCRATCH_EN: 1
; COMPUTE_PGM_RSRC2:USER_SGPR: 6
; COMPUTE_PGM_RSRC2:TRAP_HANDLER: 0
; COMPUTE_PGM_RSRC2:TGID_X_EN: 1
; COMPUTE_PGM_RSRC2:TGID_Y_EN: 0
; COMPUTE_PGM_RSRC2:TGID_Z_EN: 0
; COMPUTE_PGM_RSRC2:TIDIG_COMP_CNT: 0
; COMPUTE_PGM_RSRC3_GFX90A:ACCUM_OFFSET: 31
; COMPUTE_PGM_RSRC3_GFX90A:TG_SPLIT: 0
	.text
	.p2alignl 6, 3212836864
	.fill 256, 4, 3212836864
	.type	__hip_cuid_847ecfc2fdffe4fc,@object ; @__hip_cuid_847ecfc2fdffe4fc
	.section	.bss,"aw",@nobits
	.globl	__hip_cuid_847ecfc2fdffe4fc
__hip_cuid_847ecfc2fdffe4fc:
	.byte	0                               ; 0x0
	.size	__hip_cuid_847ecfc2fdffe4fc, 1

	.ident	"AMD clang version 19.0.0git (https://github.com/RadeonOpenCompute/llvm-project roc-6.4.0 25133 c7fe45cf4b819c5991fe208aaa96edf142730f1d)"
	.section	".note.GNU-stack","",@progbits
	.addrsig
	.addrsig_sym __hip_cuid_847ecfc2fdffe4fc
	.amdgpu_metadata
---
amdhsa.kernels:
  - .agpr_count:     0
    .args:
      - .offset:         0
        .size:           4
        .value_kind:     by_value
      - .offset:         4
        .size:           4
        .value_kind:     by_value
      - .offset:         8
        .size:           4
        .value_kind:     by_value
      - .offset:         12
        .size:           4
        .value_kind:     by_value
      - .address_space:  global
        .offset:         16
        .size:           8
        .value_kind:     global_buffer
      - .address_space:  global
        .offset:         24
        .size:           8
        .value_kind:     global_buffer
      - .address_space:  global
        .offset:         32
        .size:           8
        .value_kind:     global_buffer
      - .address_space:  global
        .offset:         40
        .size:           8
        .value_kind:     global_buffer
      - .address_space:  global
        .offset:         48
        .size:           8
        .value_kind:     global_buffer
      - .address_space:  global
        .offset:         56
        .size:           8
        .value_kind:     global_buffer
      - .address_space:  global
        .offset:         64
        .size:           8
        .value_kind:     global_buffer
    .group_segment_fixed_size: 1024
    .kernarg_segment_align: 8
    .kernarg_segment_size: 72
    .language:       OpenCL C
    .language_version:
      - 2
      - 0
    .max_flat_workgroup_size: 1024
    .name:           _ZL12rwkv_wkv_f32ILi64EEviiiiPKfS1_S1_S1_S1_S1_Pf
    .private_segment_fixed_size: 12
    .sgpr_count:     28
    .sgpr_spill_count: 0
    .symbol:         _ZL12rwkv_wkv_f32ILi64EEviiiiPKfS1_S1_S1_S1_S1_Pf.kd
    .uniform_work_group_size: 1
    .uses_dynamic_stack: false
    .vgpr_count:     128
    .vgpr_spill_count: 2
    .wavefront_size: 64
  - .agpr_count:     0
    .args:
      - .offset:         0
        .size:           4
        .value_kind:     by_value
      - .offset:         4
        .size:           4
        .value_kind:     by_value
      - .offset:         8
        .size:           4
        .value_kind:     by_value
      - .offset:         12
        .size:           4
        .value_kind:     by_value
      - .address_space:  global
        .offset:         16
        .size:           8
        .value_kind:     global_buffer
      - .address_space:  global
        .offset:         24
        .size:           8
        .value_kind:     global_buffer
      - .address_space:  global
        .offset:         32
        .size:           8
        .value_kind:     global_buffer
      - .address_space:  global
        .offset:         40
        .size:           8
        .value_kind:     global_buffer
      - .address_space:  global
        .offset:         48
        .size:           8
        .value_kind:     global_buffer
      - .address_space:  global
        .offset:         56
        .size:           8
        .value_kind:     global_buffer
      - .address_space:  global
        .offset:         64
        .size:           8
        .value_kind:     global_buffer
    .group_segment_fixed_size: 2048
    .kernarg_segment_align: 8
    .kernarg_segment_size: 72
    .language:       OpenCL C
    .language_version:
      - 2
      - 0
    .max_flat_workgroup_size: 1024
    .name:           _ZL12rwkv_wkv_f32ILi128EEviiiiPKfS1_S1_S1_S1_S1_Pf
    .private_segment_fixed_size: 172
    .sgpr_count:     36
    .sgpr_spill_count: 0
    .symbol:         _ZL12rwkv_wkv_f32ILi128EEviiiiPKfS1_S1_S1_S1_S1_Pf.kd
    .uniform_work_group_size: 1
    .uses_dynamic_stack: false
    .vgpr_count:     128
    .vgpr_spill_count: 64
    .wavefront_size: 64
  - .agpr_count:     0
    .args:
      - .offset:         0
        .size:           4
        .value_kind:     by_value
      - .offset:         4
        .size:           4
        .value_kind:     by_value
      - .offset:         8
        .size:           4
        .value_kind:     by_value
      - .offset:         12
        .size:           4
        .value_kind:     by_value
      - .address_space:  global
        .offset:         16
        .size:           8
        .value_kind:     global_buffer
      - .address_space:  global
        .offset:         24
        .size:           8
        .value_kind:     global_buffer
      - .address_space:  global
        .offset:         32
        .size:           8
        .value_kind:     global_buffer
      - .address_space:  global
        .offset:         40
        .size:           8
        .value_kind:     global_buffer
      - .address_space:  global
        .offset:         48
        .size:           8
        .value_kind:     global_buffer
      - .address_space:  global
        .offset:         56
        .size:           8
        .value_kind:     global_buffer
      - .address_space:  global
        .offset:         64
        .size:           8
        .value_kind:     global_buffer
      - .address_space:  global
        .offset:         72
        .size:           8
        .value_kind:     global_buffer
    .group_segment_fixed_size: 1280
    .kernarg_segment_align: 8
    .kernarg_segment_size: 80
    .language:       OpenCL C
    .language_version:
      - 2
      - 0
    .max_flat_workgroup_size: 1024
    .name:           _ZL13rwkv_wkv7_f32ILi64EEviiiiPKfS1_S1_S1_S1_S1_S1_Pf
    .private_segment_fixed_size: 0
    .sgpr_count:     36
    .sgpr_spill_count: 0
    .symbol:         _ZL13rwkv_wkv7_f32ILi64EEviiiiPKfS1_S1_S1_S1_S1_S1_Pf.kd
    .uniform_work_group_size: 1
    .uses_dynamic_stack: false
    .vgpr_count:     106
    .vgpr_spill_count: 0
    .wavefront_size: 64
  - .agpr_count:     0
    .args:
      - .offset:         0
        .size:           4
        .value_kind:     by_value
      - .offset:         4
        .size:           4
        .value_kind:     by_value
      - .offset:         8
        .size:           4
        .value_kind:     by_value
      - .offset:         12
        .size:           4
        .value_kind:     by_value
      - .address_space:  global
        .offset:         16
        .size:           8
        .value_kind:     global_buffer
      - .address_space:  global
        .offset:         24
        .size:           8
        .value_kind:     global_buffer
      - .address_space:  global
        .offset:         32
        .size:           8
        .value_kind:     global_buffer
      - .address_space:  global
        .offset:         40
        .size:           8
        .value_kind:     global_buffer
      - .address_space:  global
        .offset:         48
        .size:           8
        .value_kind:     global_buffer
      - .address_space:  global
        .offset:         56
        .size:           8
        .value_kind:     global_buffer
      - .address_space:  global
        .offset:         64
        .size:           8
        .value_kind:     global_buffer
      - .address_space:  global
        .offset:         72
        .size:           8
        .value_kind:     global_buffer
    .group_segment_fixed_size: 2560
    .kernarg_segment_align: 8
    .kernarg_segment_size: 80
    .language:       OpenCL C
    .language_version:
      - 2
      - 0
    .max_flat_workgroup_size: 1024
    .name:           _ZL13rwkv_wkv7_f32ILi128EEviiiiPKfS1_S1_S1_S1_S1_S1_Pf
    .private_segment_fixed_size: 484
    .sgpr_count:     36
    .sgpr_spill_count: 0
    .symbol:         _ZL13rwkv_wkv7_f32ILi128EEviiiiPKfS1_S1_S1_S1_S1_S1_Pf.kd
    .uniform_work_group_size: 1
    .uses_dynamic_stack: false
    .vgpr_count:     128
    .vgpr_spill_count: 220
    .wavefront_size: 64
amdhsa.target:   amdgcn-amd-amdhsa--gfx90a
amdhsa.version:
  - 1
  - 2
...

	.end_amdgpu_metadata
